;; amdgpu-corpus repo=ROCm/rocFFT kind=compiled arch=gfx1030 opt=O3
	.text
	.amdgcn_target "amdgcn-amd-amdhsa--gfx1030"
	.amdhsa_code_object_version 6
	.protected	fft_rtc_back_len1020_factors_2_17_2_3_5_wgs_204_tpt_68_halfLds_dp_op_CI_CI_unitstride_sbrr_R2C_dirReg ; -- Begin function fft_rtc_back_len1020_factors_2_17_2_3_5_wgs_204_tpt_68_halfLds_dp_op_CI_CI_unitstride_sbrr_R2C_dirReg
	.globl	fft_rtc_back_len1020_factors_2_17_2_3_5_wgs_204_tpt_68_halfLds_dp_op_CI_CI_unitstride_sbrr_R2C_dirReg
	.p2align	8
	.type	fft_rtc_back_len1020_factors_2_17_2_3_5_wgs_204_tpt_68_halfLds_dp_op_CI_CI_unitstride_sbrr_R2C_dirReg,@function
fft_rtc_back_len1020_factors_2_17_2_3_5_wgs_204_tpt_68_halfLds_dp_op_CI_CI_unitstride_sbrr_R2C_dirReg: ; @fft_rtc_back_len1020_factors_2_17_2_3_5_wgs_204_tpt_68_halfLds_dp_op_CI_CI_unitstride_sbrr_R2C_dirReg
; %bb.0:
	s_load_dwordx4 s[12:15], s[4:5], 0x0
	v_mul_u32_u24_e32 v1, 0x3c4, v0
	s_clause 0x1
	s_load_dwordx4 s[8:11], s[4:5], 0x58
	s_load_dwordx4 s[16:19], s[4:5], 0x18
	v_mov_b32_e32 v5, 0
	s_mov_b64 s[62:63], s[2:3]
	s_mov_b64 s[60:61], s[0:1]
	v_lshrrev_b32_e32 v3, 16, v1
	v_mov_b32_e32 v1, 0
	v_mov_b32_e32 v2, 0
	s_add_u32 s60, s60, s7
	s_addc_u32 s61, s61, 0
	v_mad_u64_u32 v[3:4], null, s6, 3, v[3:4]
	v_mov_b32_e32 v4, v5
	v_mov_b32_e32 v73, v2
	;; [unrolled: 1-line block ×5, first 2 shown]
	s_waitcnt lgkmcnt(0)
	v_cmp_lt_u64_e64 s0, s[14:15], 2
	s_and_b32 vcc_lo, exec_lo, s0
	s_cbranch_vccnz .LBB0_8
; %bb.1:
	s_load_dwordx2 s[0:1], s[4:5], 0x10
	v_mov_b32_e32 v1, 0
	v_mov_b32_e32 v2, 0
	s_add_u32 s2, s18, 8
	v_mov_b32_e32 v8, v4
	s_addc_u32 s3, s19, 0
	v_mov_b32_e32 v7, v3
	v_mov_b32_e32 v73, v2
	s_add_u32 s6, s16, 8
	v_mov_b32_e32 v72, v1
	s_addc_u32 s7, s17, 0
	s_mov_b64 s[22:23], 1
	s_waitcnt lgkmcnt(0)
	s_add_u32 s20, s0, 8
	s_addc_u32 s21, s1, 0
.LBB0_2:                                ; =>This Inner Loop Header: Depth=1
	s_load_dwordx2 s[24:25], s[20:21], 0x0
                                        ; implicit-def: $vgpr76_vgpr77
	s_mov_b32 s0, exec_lo
	s_waitcnt lgkmcnt(0)
	v_or_b32_e32 v6, s25, v8
	v_cmpx_ne_u64_e32 0, v[5:6]
	s_xor_b32 s1, exec_lo, s0
	s_cbranch_execz .LBB0_4
; %bb.3:                                ;   in Loop: Header=BB0_2 Depth=1
	v_cvt_f32_u32_e32 v4, s24
	v_cvt_f32_u32_e32 v6, s25
	s_sub_u32 s0, 0, s24
	s_subb_u32 s26, 0, s25
	v_fmac_f32_e32 v4, 0x4f800000, v6
	v_rcp_f32_e32 v4, v4
	v_mul_f32_e32 v4, 0x5f7ffffc, v4
	v_mul_f32_e32 v6, 0x2f800000, v4
	v_trunc_f32_e32 v6, v6
	v_fmac_f32_e32 v4, 0xcf800000, v6
	v_cvt_u32_f32_e32 v6, v6
	v_cvt_u32_f32_e32 v4, v4
	v_mul_lo_u32 v9, s0, v6
	v_mul_hi_u32 v10, s0, v4
	v_mul_lo_u32 v11, s26, v4
	v_add_nc_u32_e32 v9, v10, v9
	v_mul_lo_u32 v10, s0, v4
	v_add_nc_u32_e32 v9, v9, v11
	v_mul_hi_u32 v11, v4, v10
	v_mul_lo_u32 v12, v4, v9
	v_mul_hi_u32 v13, v4, v9
	v_mul_hi_u32 v14, v6, v10
	v_mul_lo_u32 v10, v6, v10
	v_mul_hi_u32 v15, v6, v9
	v_mul_lo_u32 v9, v6, v9
	v_add_co_u32 v11, vcc_lo, v11, v12
	v_add_co_ci_u32_e32 v12, vcc_lo, 0, v13, vcc_lo
	v_add_co_u32 v10, vcc_lo, v11, v10
	v_add_co_ci_u32_e32 v10, vcc_lo, v12, v14, vcc_lo
	v_add_co_ci_u32_e32 v11, vcc_lo, 0, v15, vcc_lo
	v_add_co_u32 v9, vcc_lo, v10, v9
	v_add_co_ci_u32_e32 v10, vcc_lo, 0, v11, vcc_lo
	v_add_co_u32 v4, vcc_lo, v4, v9
	v_add_co_ci_u32_e32 v6, vcc_lo, v6, v10, vcc_lo
	v_mul_hi_u32 v9, s0, v4
	v_mul_lo_u32 v11, s26, v4
	v_mul_lo_u32 v10, s0, v6
	v_add_nc_u32_e32 v9, v9, v10
	v_mul_lo_u32 v10, s0, v4
	v_add_nc_u32_e32 v9, v9, v11
	v_mul_hi_u32 v11, v4, v10
	v_mul_lo_u32 v12, v4, v9
	v_mul_hi_u32 v13, v4, v9
	v_mul_hi_u32 v14, v6, v10
	v_mul_lo_u32 v10, v6, v10
	v_mul_hi_u32 v15, v6, v9
	v_mul_lo_u32 v9, v6, v9
	v_add_co_u32 v11, vcc_lo, v11, v12
	v_add_co_ci_u32_e32 v12, vcc_lo, 0, v13, vcc_lo
	v_add_co_u32 v10, vcc_lo, v11, v10
	v_add_co_ci_u32_e32 v10, vcc_lo, v12, v14, vcc_lo
	v_add_co_ci_u32_e32 v11, vcc_lo, 0, v15, vcc_lo
	v_add_co_u32 v9, vcc_lo, v10, v9
	v_add_co_ci_u32_e32 v10, vcc_lo, 0, v11, vcc_lo
	v_add_co_u32 v4, vcc_lo, v4, v9
	v_add_co_ci_u32_e32 v6, vcc_lo, v6, v10, vcc_lo
	v_mul_hi_u32 v15, v7, v4
	v_mad_u64_u32 v[11:12], null, v8, v4, 0
	v_mad_u64_u32 v[9:10], null, v7, v6, 0
	;; [unrolled: 1-line block ×3, first 2 shown]
	v_add_co_u32 v4, vcc_lo, v15, v9
	v_add_co_ci_u32_e32 v6, vcc_lo, 0, v10, vcc_lo
	v_add_co_u32 v4, vcc_lo, v4, v11
	v_add_co_ci_u32_e32 v4, vcc_lo, v6, v12, vcc_lo
	v_add_co_ci_u32_e32 v6, vcc_lo, 0, v14, vcc_lo
	v_add_co_u32 v4, vcc_lo, v4, v13
	v_add_co_ci_u32_e32 v6, vcc_lo, 0, v6, vcc_lo
	v_mul_lo_u32 v11, s25, v4
	v_mad_u64_u32 v[9:10], null, s24, v4, 0
	v_mul_lo_u32 v12, s24, v6
	v_sub_co_u32 v9, vcc_lo, v7, v9
	v_add3_u32 v10, v10, v12, v11
	v_sub_nc_u32_e32 v11, v8, v10
	v_subrev_co_ci_u32_e64 v11, s0, s25, v11, vcc_lo
	v_add_co_u32 v12, s0, v4, 2
	v_add_co_ci_u32_e64 v13, s0, 0, v6, s0
	v_sub_co_u32 v14, s0, v9, s24
	v_sub_co_ci_u32_e32 v10, vcc_lo, v8, v10, vcc_lo
	v_subrev_co_ci_u32_e64 v11, s0, 0, v11, s0
	v_cmp_le_u32_e32 vcc_lo, s24, v14
	v_cmp_eq_u32_e64 s0, s25, v10
	v_cndmask_b32_e64 v14, 0, -1, vcc_lo
	v_cmp_le_u32_e32 vcc_lo, s25, v11
	v_cndmask_b32_e64 v15, 0, -1, vcc_lo
	v_cmp_le_u32_e32 vcc_lo, s24, v9
	v_cndmask_b32_e64 v9, 0, -1, vcc_lo
	v_cmp_le_u32_e32 vcc_lo, s25, v10
	v_cndmask_b32_e64 v16, 0, -1, vcc_lo
	v_cmp_eq_u32_e32 vcc_lo, s25, v11
	v_cndmask_b32_e64 v9, v16, v9, s0
	v_cndmask_b32_e32 v11, v15, v14, vcc_lo
	v_add_co_u32 v14, vcc_lo, v4, 1
	v_add_co_ci_u32_e32 v15, vcc_lo, 0, v6, vcc_lo
	v_cmp_ne_u32_e32 vcc_lo, 0, v11
	v_cndmask_b32_e32 v10, v15, v13, vcc_lo
	v_cndmask_b32_e32 v11, v14, v12, vcc_lo
	v_cmp_ne_u32_e32 vcc_lo, 0, v9
	v_cndmask_b32_e32 v77, v6, v10, vcc_lo
	v_cndmask_b32_e32 v76, v4, v11, vcc_lo
.LBB0_4:                                ;   in Loop: Header=BB0_2 Depth=1
	s_andn2_saveexec_b32 s0, s1
	s_cbranch_execz .LBB0_6
; %bb.5:                                ;   in Loop: Header=BB0_2 Depth=1
	v_cvt_f32_u32_e32 v4, s24
	s_sub_i32 s1, 0, s24
	v_mov_b32_e32 v77, v5
	v_rcp_iflag_f32_e32 v4, v4
	v_mul_f32_e32 v4, 0x4f7ffffe, v4
	v_cvt_u32_f32_e32 v4, v4
	v_mul_lo_u32 v6, s1, v4
	v_mul_hi_u32 v6, v4, v6
	v_add_nc_u32_e32 v4, v4, v6
	v_mul_hi_u32 v4, v7, v4
	v_mul_lo_u32 v6, v4, s24
	v_add_nc_u32_e32 v9, 1, v4
	v_sub_nc_u32_e32 v6, v7, v6
	v_subrev_nc_u32_e32 v10, s24, v6
	v_cmp_le_u32_e32 vcc_lo, s24, v6
	v_cndmask_b32_e32 v6, v6, v10, vcc_lo
	v_cndmask_b32_e32 v4, v4, v9, vcc_lo
	v_cmp_le_u32_e32 vcc_lo, s24, v6
	v_add_nc_u32_e32 v9, 1, v4
	v_cndmask_b32_e32 v76, v4, v9, vcc_lo
.LBB0_6:                                ;   in Loop: Header=BB0_2 Depth=1
	s_or_b32 exec_lo, exec_lo, s0
	v_mul_lo_u32 v4, v77, s24
	v_mul_lo_u32 v6, v76, s25
	s_load_dwordx2 s[0:1], s[6:7], 0x0
	v_mad_u64_u32 v[9:10], null, v76, s24, 0
	s_load_dwordx2 s[24:25], s[2:3], 0x0
	s_add_u32 s22, s22, 1
	s_addc_u32 s23, s23, 0
	s_add_u32 s2, s2, 8
	s_addc_u32 s3, s3, 0
	s_add_u32 s6, s6, 8
	v_add3_u32 v4, v10, v6, v4
	v_sub_co_u32 v6, vcc_lo, v7, v9
	s_addc_u32 s7, s7, 0
	s_add_u32 s20, s20, 8
	v_sub_co_ci_u32_e32 v4, vcc_lo, v8, v4, vcc_lo
	s_addc_u32 s21, s21, 0
	s_waitcnt lgkmcnt(0)
	v_mul_lo_u32 v7, s0, v4
	v_mul_lo_u32 v8, s1, v6
	v_mad_u64_u32 v[1:2], null, s0, v6, v[1:2]
	v_mul_lo_u32 v4, s24, v4
	v_mul_lo_u32 v9, s25, v6
	v_mad_u64_u32 v[72:73], null, s24, v6, v[72:73]
	v_cmp_ge_u64_e64 s0, s[22:23], s[14:15]
	v_add3_u32 v2, v8, v2, v7
	v_add3_u32 v73, v9, v73, v4
	s_and_b32 vcc_lo, exec_lo, s0
	s_cbranch_vccnz .LBB0_8
; %bb.7:                                ;   in Loop: Header=BB0_2 Depth=1
	v_mov_b32_e32 v7, v76
	v_mov_b32_e32 v8, v77
	s_branch .LBB0_2
.LBB0_8:
	s_load_dwordx2 s[0:1], s[4:5], 0x28
	v_mul_hi_u32 v4, 0xaaaaaaab, v3
	s_lshl_b64 s[4:5], s[14:15], 3
                                        ; implicit-def: $vgpr74
                                        ; implicit-def: $vgpr79
                                        ; implicit-def: $vgpr89
                                        ; implicit-def: $vgpr87
                                        ; implicit-def: $vgpr85
                                        ; implicit-def: $vgpr83
                                        ; implicit-def: $vgpr81
                                        ; implicit-def: $vgpr78
	s_add_u32 s2, s18, s4
	s_addc_u32 s3, s19, s5
	v_lshrrev_b32_e32 v4, 1, v4
	v_lshl_add_u32 v5, v4, 1, v4
	v_mul_hi_u32 v4, 0x3c3c3c4, v0
	v_sub_nc_u32_e32 v3, v3, v5
	s_waitcnt lgkmcnt(0)
	v_cmp_gt_u64_e32 vcc_lo, s[0:1], v[76:77]
	v_cmp_le_u64_e64 s0, s[0:1], v[76:77]
	s_and_saveexec_b32 s1, s0
	s_xor_b32 s0, exec_lo, s1
; %bb.9:
	v_mul_u32_u24_e32 v1, 0x44, v4
                                        ; implicit-def: $vgpr4
	v_sub_nc_u32_e32 v74, v0, v1
                                        ; implicit-def: $vgpr0
                                        ; implicit-def: $vgpr1_vgpr2
	v_add_nc_u32_e32 v79, 0x44, v74
	v_add_nc_u32_e32 v89, 0x88, v74
	;; [unrolled: 1-line block ×7, first 2 shown]
; %bb.10:
	s_or_saveexec_b32 s1, s0
	v_mul_u32_u24_e32 v3, 0x3fd, v3
	v_lshlrev_b32_e32 v84, 4, v3
	s_xor_b32 exec_lo, exec_lo, s1
	s_cbranch_execz .LBB0_12
; %bb.11:
	s_add_u32 s4, s16, s4
	s_addc_u32 s5, s17, s5
	v_lshlrev_b64 v[1:2], 4, v[1:2]
	s_load_dwordx2 s[4:5], s[4:5], 0x0
	s_waitcnt lgkmcnt(0)
	v_mul_lo_u32 v3, s5, v76
	v_mul_lo_u32 v7, s4, v77
	v_mad_u64_u32 v[5:6], null, s4, v76, 0
	v_add3_u32 v6, v6, v7, v3
	v_mul_u32_u24_e32 v7, 0x44, v4
	v_lshlrev_b64 v[3:4], 4, v[5:6]
	v_sub_nc_u32_e32 v74, v0, v7
	v_lshlrev_b32_e32 v60, 4, v74
	v_add_co_u32 v0, s0, s8, v3
	v_add_co_ci_u32_e64 v3, s0, s9, v4, s0
	v_add_nc_u32_e32 v79, 0x44, v74
	v_add_co_u32 v0, s0, v0, v1
	v_add_co_ci_u32_e64 v1, s0, v3, v2, s0
	v_add_nc_u32_e32 v89, 0x88, v74
	v_add_co_u32 v8, s0, v0, v60
	v_add_co_ci_u32_e64 v9, s0, 0, v1, s0
	s_clause 0x1
	global_load_dwordx4 v[0:3], v[8:9], off
	global_load_dwordx4 v[4:7], v[8:9], off offset:1088
	v_add_co_u32 v12, s0, 0x800, v8
	v_add_co_ci_u32_e64 v13, s0, 0, v9, s0
	v_add_co_u32 v20, s0, 0x1000, v8
	v_add_co_ci_u32_e64 v21, s0, 0, v9, s0
	;; [unrolled: 2-line block ×7, first 2 shown]
	s_clause 0xc
	global_load_dwordx4 v[8:11], v[12:13], off offset:128
	global_load_dwordx4 v[12:15], v[12:13], off offset:1216
	;; [unrolled: 1-line block ×13, first 2 shown]
	v_add_nc_u32_e32 v87, 0xcc, v74
	v_add3_u32 v60, 0, v84, v60
	v_add_nc_u32_e32 v85, 0x110, v74
	v_add_nc_u32_e32 v83, 0x154, v74
	;; [unrolled: 1-line block ×4, first 2 shown]
	s_waitcnt vmcnt(14)
	ds_write_b128 v60, v[0:3]
	s_waitcnt vmcnt(13)
	ds_write_b128 v60, v[4:7] offset:1088
	s_waitcnt vmcnt(12)
	ds_write_b128 v60, v[8:11] offset:2176
	;; [unrolled: 2-line block ×14, first 2 shown]
.LBB0_12:
	s_or_b32 exec_lo, exec_lo, s1
	v_lshlrev_b32_e32 v75, 4, v74
	v_add_nc_u32_e32 v238, 0, v84
	s_load_dwordx2 s[2:3], s[2:3], 0x0
	s_waitcnt lgkmcnt(0)
	s_barrier
	v_add3_u32 v80, 0, v75, v84
	v_add_nc_u32_e32 v82, v238, v75
	buffer_gl0_inv
	v_lshl_add_u32 v86, v74, 5, v238
	v_cmp_gt_u32_e64 s0, 34, v74
	ds_read_b128 v[0:3], v80 offset:8160
	ds_read_b128 v[8:11], v82
	ds_read_b128 v[24:27], v80 offset:1088
	ds_read_b128 v[4:7], v80 offset:9248
	;; [unrolled: 1-line block ×14, first 2 shown]
	v_lshl_add_u32 v88, v79, 5, v238
	v_lshl_add_u32 v90, v89, 5, v238
	v_lshl_add_u32 v91, v87, 5, v238
	s_waitcnt lgkmcnt(0)
	s_barrier
	v_add_f64 v[28:29], v[8:9], -v[0:1]
	v_add_f64 v[30:31], v[10:11], -v[2:3]
	;; [unrolled: 1-line block ×16, first 2 shown]
	buffer_gl0_inv
	v_fma_f64 v[8:9], v[8:9], 2.0, -v[28:29]
	v_fma_f64 v[10:11], v[10:11], 2.0, -v[30:31]
	;; [unrolled: 1-line block ×16, first 2 shown]
	v_lshl_add_u32 v65, v83, 5, v238
	v_lshl_add_u32 v66, v81, 5, v238
	;; [unrolled: 1-line block ×3, first 2 shown]
	ds_write_b128 v86, v[28:31] offset:16
	ds_write_b128 v88, v[16:19] offset:16
	;; [unrolled: 1-line block ×5, first 2 shown]
	ds_write_b128 v86, v[8:11]
	ds_write_b128 v88, v[44:47]
	;; [unrolled: 1-line block ×6, first 2 shown]
	ds_write_b128 v65, v[20:23] offset:16
	ds_write_b128 v66, v[52:55]
	ds_write_b128 v66, v[48:51] offset:16
	s_and_saveexec_b32 s1, s0
	s_cbranch_execz .LBB0_14
; %bb.13:
	v_lshlrev_b32_e32 v64, 5, v78
	v_add3_u32 v64, 0, v64, v84
	ds_write_b128 v64, v[60:63]
	ds_write_b128 v64, v[56:59] offset:16
.LBB0_14:
	s_or_b32 exec_lo, exec_lo, s1
	v_cmp_gt_u32_e64 s1, 60, v74
	s_waitcnt lgkmcnt(0)
	s_barrier
	buffer_gl0_inv
                                        ; implicit-def: $vgpr66_vgpr67
	s_and_saveexec_b32 s4, s1
	s_cbranch_execz .LBB0_16
; %bb.15:
	ds_read_b128 v[8:11], v82
	ds_read_b128 v[28:31], v80 offset:960
	ds_read_b128 v[44:47], v80 offset:1920
	;; [unrolled: 1-line block ×16, first 2 shown]
.LBB0_16:
	s_or_b32 exec_lo, exec_lo, s4
	v_and_b32_e32 v86, 1, v74
	s_mov_b32 s16, 0x2a9d6da3
	s_mov_b32 s4, 0x75d4884
	;; [unrolled: 1-line block ×4, first 2 shown]
	v_lshlrev_b32_e32 v88, 8, v86
	s_mov_b32 s17, 0xbfe58eea
	s_mov_b32 s5, 0x3fe7a5f6
	;; [unrolled: 1-line block ×4, first 2 shown]
	s_clause 0xf
	global_load_dwordx4 v[68:71], v88, s[12:13]
	global_load_dwordx4 v[90:93], v88, s[12:13] offset:240
	global_load_dwordx4 v[94:97], v88, s[12:13] offset:16
	;; [unrolled: 1-line block ×15, first 2 shown]
	s_mov_b32 s30, 0xeb564b22
	s_mov_b32 s6, 0x3259b75e
	;; [unrolled: 1-line block ×34, first 2 shown]
	s_waitcnt vmcnt(0) lgkmcnt(0)
	s_barrier
	buffer_gl0_inv
	v_mul_f64 v[102:103], v[28:29], v[70:71]
	v_mul_f64 v[108:109], v[64:65], v[92:93]
	;; [unrolled: 1-line block ×10, first 2 shown]
	v_fma_f64 v[150:151], v[30:31], v[68:69], -v[102:103]
	v_fma_f64 v[66:67], v[66:67], v[90:91], -v[108:109]
	v_mul_f64 v[30:31], v[16:17], v[106:107]
	v_fma_f64 v[108:109], v[46:47], v[94:95], -v[118:119]
	v_fma_f64 v[192:193], v[28:29], v[68:69], v[70:71]
	v_fma_f64 v[102:103], v[58:59], v[98:99], -v[120:121]
	v_fma_f64 v[100:101], v[64:65], v[90:91], v[92:93]
	v_mul_f64 v[46:47], v[18:19], v[106:107]
	v_mul_f64 v[58:59], v[36:37], v[116:117]
	v_mul_f64 v[68:69], v[62:63], v[112:113]
	v_mul_f64 v[92:93], v[48:49], v[140:141]
	v_fma_f64 v[120:121], v[62:63], v[110:111], -v[126:127]
	v_fma_f64 v[136:137], v[44:45], v[94:95], v[96:97]
	v_fma_f64 v[118:119], v[56:57], v[98:99], v[128:129]
	v_mul_f64 v[64:65], v[38:39], v[116:117]
	v_mul_f64 v[90:91], v[12:13], v[124:125]
	;; [unrolled: 1-line block ×9, first 2 shown]
	v_add_f64 v[194:195], v[150:151], -v[66:67]
	v_add_f64 v[196:197], v[150:151], v[66:67]
	v_fma_f64 v[130:131], v[18:19], v[104:105], -v[30:31]
	v_mul_f64 v[18:19], v[34:35], v[158:159]
	v_add_f64 v[56:57], v[108:109], -v[102:103]
	v_add_f64 v[28:29], v[108:109], v[102:103]
	v_add_f64 v[224:225], v[192:193], v[100:101]
	v_add_f64 v[228:229], v[192:193], -v[100:101]
	v_fma_f64 v[140:141], v[16:17], v[104:105], v[46:47]
	v_fma_f64 v[126:127], v[60:61], v[110:111], v[68:69]
	v_fma_f64 v[142:143], v[38:39], v[114:115], -v[58:59]
	v_fma_f64 v[132:133], v[50:51], v[138:139], -v[92:93]
	v_add_f64 v[38:39], v[136:137], v[118:119]
	v_add_f64 v[62:63], v[136:137], -v[118:119]
	v_fma_f64 v[152:153], v[36:37], v[114:115], v[64:65]
	v_fma_f64 v[154:155], v[14:15], v[122:123], -v[90:91]
	v_fma_f64 v[146:147], v[54:55], v[160:161], -v[44:45]
	v_fma_f64 v[144:145], v[48:49], v[138:139], v[106:107]
	v_mul_f64 v[98:99], v[4:5], v[166:167]
	v_mul_f64 v[138:139], v[40:41], v[182:183]
	v_fma_f64 v[166:167], v[12:13], v[122:123], v[70:71]
	v_fma_f64 v[168:169], v[34:35], v[156:157], -v[94:95]
	v_mul_f64 v[230:231], v[194:195], s[16:17]
	v_mul_f64 v[234:235], v[196:197], s[4:5]
	;; [unrolled: 1-line block ×4, first 2 shown]
	v_add_f64 v[58:59], v[130:131], -v[120:121]
	v_add_f64 v[30:31], v[130:131], v[120:121]
	v_mul_f64 v[214:215], v[56:57], s[30:31]
	v_mul_f64 v[216:217], v[28:29], s[6:7]
	;; [unrolled: 1-line block ×4, first 2 shown]
	v_add_f64 v[36:37], v[140:141], v[126:127]
	v_add_f64 v[68:69], v[140:141], -v[126:127]
	v_add_f64 v[60:61], v[142:143], -v[132:133]
	v_add_f64 v[44:45], v[142:143], v[132:133]
	v_fma_f64 v[162:163], v[22:23], v[170:171], -v[124:125]
	v_fma_f64 v[160:161], v[52:53], v[160:161], v[128:129]
	v_add_f64 v[64:65], v[154:155], -v[146:147]
	v_add_f64 v[34:35], v[152:153], v[144:145]
	v_add_f64 v[90:91], v[152:153], -v[144:145]
	v_mul_f64 v[16:17], v[24:25], v[190:191]
	v_fma_f64 v[176:177], v[32:33], v[156:157], v[18:19]
	v_fma_f64 v[178:179], v[6:7], v[164:165], -v[98:99]
	v_fma_f64 v[46:47], v[224:225], s[4:5], -v[230:231]
	v_fma_f64 v[50:51], v[228:229], s[16:17], v[234:235]
	v_fma_f64 v[92:93], v[224:225], s[22:23], -v[232:233]
	v_fma_f64 v[104:105], v[228:229], s[40:41], v[236:237]
	v_mul_f64 v[218:219], v[58:59], s[24:25]
	v_mul_f64 v[220:221], v[30:31], s[8:9]
	;; [unrolled: 1-line block ×4, first 2 shown]
	v_fma_f64 v[14:15], v[38:39], s[6:7], -v[214:215]
	v_fma_f64 v[48:49], v[62:63], s[30:31], v[216:217]
	v_fma_f64 v[54:55], v[38:39], s[8:9], -v[110:111]
	v_fma_f64 v[106:107], v[62:63], s[24:25], v[112:113]
	v_mul_f64 v[222:223], v[60:61], s[26:27]
	v_mul_f64 v[226:227], v[44:45], s[14:15]
	;; [unrolled: 1-line block ×4, first 2 shown]
	v_fma_f64 v[174:175], v[42:43], v[180:181], -v[138:139]
	v_fma_f64 v[172:173], v[20:21], v[170:171], v[148:149]
	v_add_f64 v[32:33], v[166:167], v[160:161]
	v_add_f64 v[70:71], v[168:169], -v[162:163]
	v_mul_f64 v[200:201], v[64:65], s[36:37]
	v_mul_f64 v[128:129], v[64:65], s[44:45]
	v_add_f64 v[134:135], v[8:9], v[46:47]
	v_add_f64 v[50:51], v[10:11], v[50:51]
	;; [unrolled: 1-line block ×5, first 2 shown]
	v_fma_f64 v[12:13], v[36:37], s[8:9], -v[218:219]
	v_fma_f64 v[22:23], v[68:69], s[24:25], v[220:221]
	v_fma_f64 v[52:53], v[36:37], s[14:15], -v[114:115]
	v_fma_f64 v[94:95], v[68:69], s[38:39], v[116:117]
	v_fma_f64 v[184:185], v[4:5], v[164:165], v[96:97]
	v_fma_f64 v[186:187], v[26:27], v[188:189], -v[16:17]
	v_fma_f64 v[6:7], v[34:35], s[14:15], -v[222:223]
	v_fma_f64 v[18:19], v[90:91], s[26:27], v[226:227]
	v_fma_f64 v[20:21], v[34:35], s[20:21], -v[122:123]
	v_fma_f64 v[98:99], v[90:91], s[34:35], v[124:125]
	v_add_f64 v[96:97], v[176:177], -v[172:173]
	v_mul_f64 v[202:203], v[70:71], s[34:35]
	v_mul_f64 v[138:139], v[70:71], s[42:43]
	v_fma_f64 v[16:17], v[32:33], s[4:5], -v[128:129]
	v_add_f64 v[14:15], v[14:15], v[134:135]
	v_add_f64 v[48:49], v[48:49], v[50:51]
	;; [unrolled: 1-line block ×4, first 2 shown]
	v_mul_f64 v[104:105], v[0:1], v[206:207]
	v_mul_f64 v[106:107], v[42:43], v[182:183]
	v_add_f64 v[92:93], v[166:167], -v[160:161]
	v_add_f64 v[42:43], v[168:169], v[162:163]
	v_mul_f64 v[208:209], v[46:47], s[18:19]
	v_mul_f64 v[134:135], v[46:47], s[4:5]
	v_add_f64 v[12:13], v[12:13], v[14:15]
	v_add_f64 v[14:15], v[22:23], v[48:49]
	;; [unrolled: 1-line block ×4, first 2 shown]
	v_mul_f64 v[52:53], v[26:27], v[190:191]
	v_mul_f64 v[54:55], v[2:3], v[206:207]
	v_fma_f64 v[182:183], v[2:3], v[204:205], -v[104:105]
	v_fma_f64 v[180:181], v[40:41], v[180:181], v[106:107]
	v_add_f64 v[40:41], v[176:177], v[172:173]
	v_add_f64 v[94:95], v[178:179], -v[174:175]
	v_add_f64 v[48:49], v[178:179], v[174:175]
	v_mul_f64 v[210:211], v[42:43], s[20:21]
	v_mul_f64 v[148:149], v[42:43], s[28:29]
	v_fma_f64 v[2:3], v[32:33], s[18:19], -v[200:201]
	v_fma_f64 v[4:5], v[92:93], s[36:37], v[208:209]
	v_fma_f64 v[26:27], v[92:93], s[44:45], v[134:135]
	v_add_f64 v[6:7], v[6:7], v[12:13]
	v_add_f64 v[12:13], v[18:19], v[14:15]
	;; [unrolled: 1-line block ×4, first 2 shown]
	v_fma_f64 v[190:191], v[24:25], v[188:189], v[52:53]
	v_fma_f64 v[188:189], v[0:1], v[204:205], v[54:55]
	v_add_f64 v[98:99], v[186:187], -v[182:183]
	v_add_f64 v[50:51], v[184:185], v[180:181]
	v_add_f64 v[104:105], v[184:185], -v[180:181]
	v_add_f64 v[52:53], v[186:187], v[182:183]
	v_mul_f64 v[204:205], v[94:95], s[46:47]
	v_mul_f64 v[212:213], v[48:49], s[22:23]
	;; [unrolled: 1-line block ×4, first 2 shown]
	v_fma_f64 v[0:1], v[40:41], s[20:21], -v[202:203]
	v_fma_f64 v[20:21], v[96:97], s[34:35], v[210:211]
	v_fma_f64 v[22:23], v[40:41], s[28:29], -v[138:139]
	v_fma_f64 v[24:25], v[96:97], s[42:43], v[148:149]
	v_add_f64 v[2:3], v[2:3], v[6:7]
	v_add_f64 v[4:5], v[4:5], v[12:13]
	;; [unrolled: 1-line block ×5, first 2 shown]
	v_add_f64 v[106:107], v[190:191], -v[188:189]
	v_mul_f64 v[198:199], v[98:99], s[50:51]
	v_mul_f64 v[164:165], v[98:99], s[48:49]
	;; [unrolled: 1-line block ×4, first 2 shown]
	v_fma_f64 v[14:15], v[50:51], s[22:23], -v[204:205]
	v_fma_f64 v[16:17], v[104:105], s[46:47], v[212:213]
	v_fma_f64 v[18:19], v[50:51], s[6:7], -v[156:157]
	v_fma_f64 v[26:27], v[104:105], s[30:31], v[158:159]
	v_add_f64 v[0:1], v[0:1], v[2:3]
	v_add_f64 v[2:3], v[20:21], v[4:5]
	;; [unrolled: 1-line block ×4, first 2 shown]
	v_fma_f64 v[12:13], v[54:55], s[28:29], -v[198:199]
	v_fma_f64 v[22:23], v[54:55], s[18:19], -v[164:165]
	v_fma_f64 v[20:21], v[106:107], s[50:51], v[206:207]
	v_fma_f64 v[24:25], v[106:107], s[48:49], v[170:171]
	v_add_f64 v[0:1], v[14:15], v[0:1]
	v_add_f64 v[2:3], v[16:17], v[2:3]
	;; [unrolled: 1-line block ×8, first 2 shown]
	s_and_saveexec_b32 s33, s1
	s_cbranch_execz .LBB0_18
; %bb.17:
	v_mul_f64 v[16:17], v[228:229], s[26:27]
	v_mul_f64 v[18:19], v[62:63], s[50:51]
	;; [unrolled: 1-line block ×4, first 2 shown]
	s_mov_b32 s55, 0xbfeec746
	s_mov_b32 s54, s34
	;; [unrolled: 1-line block ×4, first 2 shown]
	buffer_store_dword v110, off, s[60:63], 0 offset:32 ; 4-byte Folded Spill
	buffer_store_dword v111, off, s[60:63], 0 offset:36 ; 4-byte Folded Spill
	;; [unrolled: 1-line block ×4, first 2 shown]
	v_mul_f64 v[112:113], v[106:107], s[52:53]
	buffer_store_dword v114, off, s[60:63], 0 offset:48 ; 4-byte Folded Spill
	buffer_store_dword v115, off, s[60:63], 0 offset:52 ; 4-byte Folded Spill
	v_mul_f64 v[114:115], v[98:99], s[52:53]
	s_mov_b32 s57, 0x3fe9895b
	s_mov_b32 s56, s24
	v_fma_f64 v[12:13], v[196:197], s[14:15], v[16:17]
	v_fma_f64 v[14:15], v[28:29], s[28:29], v[18:19]
	v_fma_f64 v[16:17], v[196:197], s[14:15], -v[16:17]
	v_fma_f64 v[24:25], v[38:39], s[28:29], -v[22:23]
	;; [unrolled: 1-line block ×3, first 2 shown]
	v_add_f64 v[12:13], v[10:11], v[12:13]
	v_add_f64 v[16:17], v[10:11], v[16:17]
	;; [unrolled: 1-line block ×3, first 2 shown]
	v_fma_f64 v[14:15], v[224:225], s[14:15], -v[20:21]
	v_add_f64 v[16:17], v[18:19], v[16:17]
	v_fma_f64 v[18:19], v[224:225], s[14:15], v[20:21]
	v_fma_f64 v[20:21], v[38:39], s[28:29], v[22:23]
	;; [unrolled: 1-line block ×3, first 2 shown]
	v_add_f64 v[14:15], v[8:9], v[14:15]
	v_add_f64 v[18:19], v[8:9], v[18:19]
	;; [unrolled: 1-line block ×3, first 2 shown]
	v_mul_f64 v[24:25], v[68:69], s[48:49]
	v_add_f64 v[18:19], v[20:21], v[18:19]
	v_fma_f64 v[26:27], v[30:31], s[18:19], v[24:25]
	v_fma_f64 v[20:21], v[30:31], s[18:19], -v[24:25]
	v_mul_f64 v[24:25], v[228:229], s[48:49]
	v_add_f64 v[12:13], v[26:27], v[12:13]
	v_mul_f64 v[26:27], v[58:59], s[48:49]
	v_add_f64 v[16:17], v[20:21], v[16:17]
	v_fma_f64 v[239:240], v[36:37], s[18:19], -v[26:27]
	v_fma_f64 v[20:21], v[36:37], s[18:19], v[26:27]
	v_mul_f64 v[26:27], v[62:63], s[46:47]
	v_add_f64 v[14:15], v[239:240], v[14:15]
	v_mul_f64 v[239:240], v[90:91], s[44:45]
	v_add_f64 v[18:19], v[20:21], v[18:19]
	v_fma_f64 v[241:242], v[44:45], s[4:5], v[239:240]
	v_fma_f64 v[20:21], v[44:45], s[4:5], -v[239:240]
	v_add_f64 v[12:13], v[241:242], v[12:13]
	v_mul_f64 v[241:242], v[60:61], s[44:45]
	v_add_f64 v[16:17], v[20:21], v[16:17]
	v_fma_f64 v[243:244], v[34:35], s[4:5], -v[241:242]
	v_fma_f64 v[20:21], v[34:35], s[4:5], v[241:242]
	v_add_f64 v[14:15], v[243:244], v[14:15]
	v_mul_f64 v[243:244], v[92:93], s[24:25]
	v_add_f64 v[18:19], v[20:21], v[18:19]
	v_fma_f64 v[245:246], v[46:47], s[8:9], v[243:244]
	v_fma_f64 v[20:21], v[46:47], s[8:9], -v[243:244]
	v_add_f64 v[12:13], v[245:246], v[12:13]
	v_mul_f64 v[245:246], v[64:65], s[24:25]
	v_add_f64 v[16:17], v[20:21], v[16:17]
	v_fma_f64 v[247:248], v[32:33], s[8:9], -v[245:246]
	v_fma_f64 v[20:21], v[32:33], s[8:9], v[245:246]
	;; [unrolled: 10-line block ×4, first 2 shown]
	v_add_f64 v[110:111], v[110:111], v[14:15]
	v_fma_f64 v[14:15], v[52:53], s[6:7], v[112:113]
	v_add_f64 v[20:21], v[20:21], v[18:19]
	v_fma_f64 v[18:19], v[52:53], s[6:7], -v[112:113]
	v_mul_f64 v[112:113], v[56:57], s[46:47]
	v_add_f64 v[14:15], v[14:15], v[12:13]
	v_fma_f64 v[12:13], v[54:55], s[6:7], -v[114:115]
	v_fma_f64 v[114:115], v[38:39], s[22:23], -v[112:113]
	v_add_f64 v[12:13], v[12:13], v[110:111]
	v_mul_f64 v[110:111], v[194:195], s[48:49]
	buffer_store_dword v12, off, s[60:63], 0 ; 4-byte Folded Spill
	buffer_store_dword v13, off, s[60:63], 0 offset:4 ; 4-byte Folded Spill
	buffer_store_dword v14, off, s[60:63], 0 offset:8 ; 4-byte Folded Spill
	;; [unrolled: 1-line block ×3, first 2 shown]
	v_add_f64 v[12:13], v[22:23], v[20:21]
	v_fma_f64 v[20:21], v[196:197], s[18:19], v[24:25]
	v_fma_f64 v[22:23], v[28:29], s[22:23], v[26:27]
	v_add_f64 v[14:15], v[18:19], v[16:17]
	v_fma_f64 v[18:19], v[28:29], s[22:23], -v[26:27]
	buffer_store_dword v12, off, s[60:63], 0 offset:16 ; 4-byte Folded Spill
	buffer_store_dword v13, off, s[60:63], 0 offset:20 ; 4-byte Folded Spill
	;; [unrolled: 1-line block ×4, first 2 shown]
	v_add_f64 v[20:21], v[10:11], v[20:21]
	v_mul_f64 v[14:15], v[94:95], s[44:45]
	buffer_store_dword v116, off, s[60:63], 0 offset:56 ; 4-byte Folded Spill
	buffer_store_dword v117, off, s[60:63], 0 offset:60 ; 4-byte Folded Spill
	v_mul_f64 v[116:117], v[106:107], s[54:55]
	v_add_f64 v[20:21], v[22:23], v[20:21]
	v_fma_f64 v[22:23], v[224:225], s[18:19], -v[110:111]
	v_add_f64 v[22:23], v[8:9], v[22:23]
	v_add_f64 v[22:23], v[114:115], v[22:23]
	v_mul_f64 v[114:115], v[68:69], s[30:31]
	v_fma_f64 v[239:240], v[30:31], s[6:7], v[114:115]
	v_add_f64 v[20:21], v[239:240], v[20:21]
	v_mul_f64 v[239:240], v[58:59], s[30:31]
	v_fma_f64 v[241:242], v[36:37], s[6:7], -v[239:240]
	v_add_f64 v[22:23], v[241:242], v[22:23]
	v_mul_f64 v[241:242], v[90:91], s[56:57]
	v_fma_f64 v[243:244], v[44:45], s[8:9], v[241:242]
	v_add_f64 v[20:21], v[243:244], v[20:21]
	v_mul_f64 v[243:244], v[60:61], s[56:57]
	v_fma_f64 v[245:246], v[34:35], s[8:9], -v[243:244]
	;; [unrolled: 6-line block ×4, first 2 shown]
	v_add_f64 v[22:23], v[253:254], v[22:23]
	v_mul_f64 v[253:254], v[104:105], s[44:45]
	v_fma_f64 v[12:13], v[48:49], s[4:5], v[253:254]
	v_add_f64 v[12:13], v[12:13], v[20:21]
	v_fma_f64 v[20:21], v[50:51], s[4:5], -v[14:15]
	v_fma_f64 v[14:15], v[50:51], s[4:5], v[14:15]
	v_add_f64 v[20:21], v[20:21], v[22:23]
	v_fma_f64 v[22:23], v[52:53], s[20:21], v[116:117]
	v_add_f64 v[22:23], v[22:23], v[12:13]
	v_mul_f64 v[12:13], v[98:99], s[54:55]
	v_fma_f64 v[16:17], v[54:55], s[20:21], -v[12:13]
	v_fma_f64 v[12:13], v[54:55], s[20:21], v[12:13]
	v_add_f64 v[20:21], v[16:17], v[20:21]
	v_fma_f64 v[16:17], v[196:197], s[18:19], -v[24:25]
	v_fma_f64 v[24:25], v[38:39], s[22:23], v[112:113]
	v_mul_f64 v[112:113], v[228:229], s[30:31]
	v_add_f64 v[16:17], v[10:11], v[16:17]
	v_add_f64 v[16:17], v[18:19], v[16:17]
	v_fma_f64 v[18:19], v[224:225], s[18:19], v[110:111]
	v_mul_f64 v[110:111], v[228:229], s[24:25]
	v_add_f64 v[18:19], v[8:9], v[18:19]
	v_add_f64 v[18:19], v[24:25], v[18:19]
	v_fma_f64 v[24:25], v[30:31], s[6:7], -v[114:115]
	v_mul_f64 v[114:115], v[228:229], s[42:43]
	v_add_f64 v[16:17], v[24:25], v[16:17]
	v_fma_f64 v[24:25], v[36:37], s[6:7], v[239:240]
	v_mul_f64 v[239:240], v[194:195], s[30:31]
	v_add_f64 v[18:19], v[24:25], v[18:19]
	v_fma_f64 v[24:25], v[44:45], s[8:9], -v[241:242]
	v_add_f64 v[16:17], v[24:25], v[16:17]
	v_fma_f64 v[24:25], v[34:35], s[8:9], v[243:244]
	v_add_f64 v[18:19], v[24:25], v[18:19]
	v_fma_f64 v[24:25], v[46:47], s[28:29], -v[245:246]
	v_fma_f64 v[245:246], v[224:225], s[6:7], -v[239:240]
	v_fma_f64 v[239:240], v[224:225], s[6:7], v[239:240]
	v_add_f64 v[16:17], v[24:25], v[16:17]
	v_fma_f64 v[24:25], v[32:33], s[28:29], v[247:248]
	v_add_f64 v[239:240], v[8:9], v[239:240]
	v_add_f64 v[18:19], v[24:25], v[18:19]
	v_fma_f64 v[24:25], v[42:43], s[14:15], -v[249:250]
	v_add_f64 v[16:17], v[24:25], v[16:17]
	v_fma_f64 v[24:25], v[40:41], s[14:15], v[251:252]
	v_add_f64 v[18:19], v[24:25], v[18:19]
	v_fma_f64 v[24:25], v[48:49], s[4:5], -v[253:254]
	v_add_f64 v[14:15], v[14:15], v[18:19]
	v_add_f64 v[16:17], v[24:25], v[16:17]
	v_fma_f64 v[18:19], v[52:53], s[20:21], -v[116:117]
	v_mul_f64 v[116:117], v[228:229], s[54:55]
	v_add_f64 v[24:25], v[12:13], v[14:15]
	v_mul_f64 v[12:13], v[228:229], s[40:41]
	v_add_f64 v[26:27], v[18:19], v[16:17]
	v_mul_f64 v[14:15], v[228:229], s[16:17]
	v_mul_f64 v[16:17], v[224:225], s[22:23]
	;; [unrolled: 1-line block ×3, first 2 shown]
	v_fma_f64 v[228:229], v[196:197], s[8:9], v[110:111]
	v_fma_f64 v[110:111], v[196:197], s[8:9], -v[110:111]
	v_add_f64 v[12:13], v[236:237], -v[12:13]
	v_mul_f64 v[236:237], v[194:195], s[54:55]
	v_add_f64 v[14:15], v[234:235], -v[14:15]
	v_add_f64 v[16:17], v[16:17], v[232:233]
	v_add_f64 v[18:19], v[18:19], v[230:231]
	v_fma_f64 v[230:231], v[196:197], s[6:7], v[112:113]
	v_fma_f64 v[112:113], v[196:197], s[6:7], -v[112:113]
	v_fma_f64 v[232:233], v[196:197], s[28:29], v[114:115]
	v_fma_f64 v[114:115], v[196:197], s[28:29], -v[114:115]
	;; [unrolled: 2-line block ×3, first 2 shown]
	v_mul_f64 v[196:197], v[194:195], s[24:25]
	v_mul_f64 v[194:195], v[194:195], s[42:43]
	v_add_f64 v[228:229], v[10:11], v[228:229]
	v_add_f64 v[249:250], v[10:11], v[110:111]
	;; [unrolled: 1-line block ×4, first 2 shown]
	v_fma_f64 v[243:244], v[224:225], s[20:21], -v[236:237]
	v_fma_f64 v[236:237], v[224:225], s[20:21], v[236:237]
	v_add_f64 v[16:17], v[8:9], v[16:17]
	v_add_f64 v[18:19], v[8:9], v[18:19]
	;; [unrolled: 1-line block ×8, first 2 shown]
	v_fma_f64 v[241:242], v[224:225], s[8:9], -v[196:197]
	v_fma_f64 v[196:197], v[224:225], s[8:9], v[196:197]
	v_fma_f64 v[247:248], v[224:225], s[28:29], -v[194:195]
	v_fma_f64 v[224:225], v[224:225], s[28:29], v[194:195]
	v_add_f64 v[194:195], v[8:9], v[245:246]
	v_add_f64 v[243:244], v[8:9], v[243:244]
	;; [unrolled: 1-line block ×9, first 2 shown]
	v_mul_f64 v[8:9], v[62:63], s[30:31]
	v_mul_f64 v[10:11], v[38:39], s[6:7]
	v_add_f64 v[8:9], v[216:217], -v[8:9]
	v_add_f64 v[10:11], v[10:11], v[214:215]
	v_mul_f64 v[214:215], v[68:69], s[24:25]
	v_add_f64 v[8:9], v[8:9], v[14:15]
	v_mul_f64 v[14:15], v[36:37], s[8:9]
	v_add_f64 v[214:215], v[220:221], -v[214:215]
	v_add_f64 v[10:11], v[10:11], v[18:19]
	v_mul_f64 v[18:19], v[90:91], s[26:27]
	v_add_f64 v[14:15], v[14:15], v[218:219]
	v_add_f64 v[8:9], v[214:215], v[8:9]
	v_mul_f64 v[214:215], v[34:35], s[14:15]
	v_add_f64 v[18:19], v[226:227], -v[18:19]
	v_add_f64 v[10:11], v[14:15], v[10:11]
	v_mul_f64 v[14:15], v[92:93], s[36:37]
	v_add_f64 v[214:215], v[214:215], v[222:223]
	v_add_f64 v[8:9], v[18:19], v[8:9]
	v_mul_f64 v[18:19], v[32:33], s[18:19]
	v_add_f64 v[14:15], v[208:209], -v[14:15]
	v_add_f64 v[10:11], v[214:215], v[10:11]
	v_add_f64 v[18:19], v[18:19], v[200:201]
	v_mul_f64 v[200:201], v[96:97], s[34:35]
	v_add_f64 v[8:9], v[14:15], v[8:9]
	v_mul_f64 v[14:15], v[40:41], s[20:21]
	v_add_f64 v[10:11], v[18:19], v[10:11]
	v_add_f64 v[200:201], v[210:211], -v[200:201]
	v_mul_f64 v[18:19], v[104:105], s[46:47]
	v_mul_f64 v[210:211], v[58:59], s[42:43]
	v_add_f64 v[14:15], v[14:15], v[202:203]
	v_mul_f64 v[202:203], v[94:95], s[42:43]
	v_add_f64 v[8:9], v[200:201], v[8:9]
	v_add_f64 v[18:19], v[212:213], -v[18:19]
	v_mul_f64 v[200:201], v[50:51], s[22:23]
	v_add_f64 v[10:11], v[14:15], v[10:11]
	v_mul_f64 v[14:15], v[106:107], s[50:51]
	v_add_f64 v[8:9], v[18:19], v[8:9]
	v_add_f64 v[200:201], v[200:201], v[204:205]
	v_mul_f64 v[18:19], v[54:55], s[28:29]
	v_mul_f64 v[204:205], v[106:107], s[24:25]
	v_add_f64 v[14:15], v[206:207], -v[14:15]
	v_add_f64 v[18:19], v[18:19], v[198:199]
	v_add_f64 v[198:199], v[200:201], v[10:11]
	v_mul_f64 v[200:201], v[70:71], s[52:53]
	v_add_f64 v[10:11], v[14:15], v[8:9]
	v_add_f64 v[14:15], v[110:111], v[108:109]
	;; [unrolled: 1-line block ×4, first 2 shown]
	v_mul_f64 v[136:137], v[90:91], s[30:31]
	v_mul_f64 v[198:199], v[104:105], s[42:43]
	v_add_f64 v[14:15], v[14:15], v[130:131]
	v_mul_f64 v[130:131], v[68:69], s[40:41]
	v_add_f64 v[18:19], v[18:19], v[140:141]
	;; [unrolled: 2-line block ×3, first 2 shown]
	v_fma_f64 v[108:109], v[30:31], s[22:23], -v[130:131]
	v_mul_f64 v[142:143], v[92:93], s[54:55]
	v_add_f64 v[18:19], v[18:19], v[152:153]
	v_mul_f64 v[152:153], v[70:71], s[24:25]
	v_add_f64 v[14:15], v[14:15], v[154:155]
	;; [unrolled: 2-line block ×4, first 2 shown]
	v_mul_f64 v[168:169], v[70:71], s[48:49]
	v_mul_f64 v[70:71], v[70:71], s[16:17]
	v_add_f64 v[18:19], v[18:19], v[176:177]
	v_mul_f64 v[176:177], v[68:69], s[44:45]
	v_add_f64 v[14:15], v[14:15], v[178:179]
	;; [unrolled: 2-line block ×13, first 2 shown]
	v_mul_f64 v[160:161], v[94:95], s[48:49]
	v_mul_f64 v[94:95], v[94:95], s[26:27]
	v_add_f64 v[14:15], v[14:15], v[132:133]
	v_mul_f64 v[132:133], v[58:59], s[40:41]
	v_add_f64 v[18:19], v[18:19], v[144:145]
	v_mul_f64 v[144:145], v[64:65], s[54:55]
	v_mul_f64 v[64:65], v[64:65], s[52:53]
	v_add_f64 v[14:15], v[14:15], v[120:121]
	v_add_f64 v[18:19], v[18:19], v[126:127]
	v_mul_f64 v[126:127], v[56:57], s[16:17]
	v_add_f64 v[14:15], v[14:15], v[102:103]
	v_add_f64 v[18:19], v[18:19], v[118:119]
	;; [unrolled: 1-line block ×3, first 2 shown]
	v_mul_f64 v[14:15], v[62:63], s[16:17]
	v_fma_f64 v[66:67], v[38:39], s[4:5], v[126:127]
	v_add_f64 v[100:101], v[18:19], v[100:101]
	v_fma_f64 v[18:19], v[28:29], s[4:5], -v[14:15]
	v_add_f64 v[66:67], v[66:67], v[224:225]
	v_add_f64 v[18:19], v[18:19], v[114:115]
	;; [unrolled: 1-line block ×3, first 2 shown]
	v_fma_f64 v[108:109], v[36:37], s[22:23], v[132:133]
	v_add_f64 v[66:67], v[108:109], v[66:67]
	v_fma_f64 v[108:109], v[44:45], s[6:7], -v[136:137]
	v_add_f64 v[18:19], v[108:109], v[18:19]
	v_fma_f64 v[108:109], v[34:35], s[6:7], v[140:141]
	v_add_f64 v[66:67], v[108:109], v[66:67]
	v_fma_f64 v[108:109], v[46:47], s[20:21], -v[142:143]
	v_add_f64 v[18:19], v[108:109], v[18:19]
	;; [unrolled: 4-line block ×5, first 2 shown]
	v_mul_f64 v[18:19], v[98:99], s[26:27]
	v_fma_f64 v[108:109], v[54:55], s[14:15], v[18:19]
	v_fma_f64 v[18:19], v[54:55], s[14:15], -v[18:19]
	v_add_f64 v[118:119], v[108:109], v[66:67]
	s_clause 0x3
	buffer_load_dword v108, off, s[60:63], 0 offset:40
	buffer_load_dword v109, off, s[60:63], 0 offset:44
	;; [unrolled: 1-line block ×4, first 2 shown]
	v_mul_f64 v[66:67], v[62:63], s[24:25]
	s_waitcnt vmcnt(2)
	v_add_f64 v[66:67], v[108:109], -v[66:67]
	v_mul_f64 v[108:109], v[68:69], s[38:39]
	v_add_f64 v[12:13], v[66:67], v[12:13]
	s_waitcnt vmcnt(0)
	v_add_f64 v[108:109], v[110:111], -v[108:109]
	s_clause 0x3
	buffer_load_dword v110, off, s[60:63], 0 offset:32
	buffer_load_dword v111, off, s[60:63], 0 offset:36
	;; [unrolled: 1-line block ×4, first 2 shown]
	v_mul_f64 v[66:67], v[90:91], s[34:35]
	v_add_f64 v[12:13], v[108:109], v[12:13]
	v_mul_f64 v[108:109], v[38:39], s[8:9]
	v_add_f64 v[66:67], v[124:125], -v[66:67]
	v_fma_f64 v[124:125], v[36:37], s[4:5], v[184:185]
	v_add_f64 v[12:13], v[66:67], v[12:13]
	v_mul_f64 v[66:67], v[32:33], s[4:5]
	v_add_f64 v[66:67], v[66:67], v[128:129]
	v_mul_f64 v[128:129], v[68:69], s[34:35]
	v_mul_f64 v[68:69], v[68:69], s[42:43]
	v_fma_f64 v[208:209], v[30:31], s[28:29], -v[68:69]
	v_fma_f64 v[68:69], v[30:31], s[28:29], v[68:69]
	s_waitcnt vmcnt(2)
	v_add_f64 v[108:109], v[108:109], v[110:111]
	v_mul_f64 v[110:111], v[36:37], s[14:15]
	v_add_f64 v[16:17], v[108:109], v[16:17]
	s_waitcnt vmcnt(0)
	v_add_f64 v[110:111], v[110:111], v[114:115]
	v_mul_f64 v[108:109], v[34:35], s[20:21]
	v_add_f64 v[16:17], v[110:111], v[16:17]
	v_mul_f64 v[110:111], v[92:93], s[44:45]
	v_add_f64 v[108:109], v[108:109], v[122:123]
	v_add_f64 v[110:111], v[134:135], -v[110:111]
	v_add_f64 v[16:17], v[108:109], v[16:17]
	v_mul_f64 v[108:109], v[96:97], s[42:43]
	v_mul_f64 v[134:135], v[90:91], s[50:51]
	;; [unrolled: 1-line block ×3, first 2 shown]
	v_add_f64 v[12:13], v[110:111], v[12:13]
	v_mul_f64 v[110:111], v[40:41], s[28:29]
	v_add_f64 v[108:109], v[148:149], -v[108:109]
	v_add_f64 v[16:17], v[66:67], v[16:17]
	v_mul_f64 v[66:67], v[104:105], s[30:31]
	v_mul_f64 v[148:149], v[96:97], s[48:49]
	;; [unrolled: 1-line block ×3, first 2 shown]
	v_add_f64 v[110:111], v[110:111], v[138:139]
	v_add_f64 v[12:13], v[108:109], v[12:13]
	v_mul_f64 v[108:109], v[50:51], s[6:7]
	v_add_f64 v[66:67], v[158:159], -v[66:67]
	v_mul_f64 v[138:139], v[92:93], s[40:41]
	v_mul_f64 v[158:159], v[58:59], s[34:35]
	;; [unrolled: 1-line block ×3, first 2 shown]
	v_fma_f64 v[58:59], v[36:37], s[28:29], v[210:211]
	v_add_f64 v[16:17], v[110:111], v[16:17]
	v_mul_f64 v[110:111], v[106:107], s[48:49]
	v_add_f64 v[108:109], v[108:109], v[156:157]
	v_add_f64 v[12:13], v[66:67], v[12:13]
	v_mul_f64 v[66:67], v[54:55], s[18:19]
	v_mul_f64 v[156:157], v[56:57], s[26:27]
	;; [unrolled: 1-line block ×3, first 2 shown]
	v_add_f64 v[110:111], v[170:171], -v[110:111]
	v_add_f64 v[16:17], v[108:109], v[16:17]
	v_mul_f64 v[170:171], v[104:105], s[56:57]
	v_add_f64 v[66:67], v[66:67], v[164:165]
	v_mul_f64 v[164:165], v[60:61], s[50:51]
	v_mul_f64 v[104:105], v[104:105], s[26:27]
	;; [unrolled: 1-line block ×3, first 2 shown]
	v_add_f64 v[110:111], v[110:111], v[12:13]
	v_mul_f64 v[12:13], v[62:63], s[26:27]
	v_add_f64 v[108:109], v[66:67], v[16:17]
	v_fma_f64 v[66:67], v[30:31], s[20:21], -v[128:129]
	v_fma_f64 v[16:17], v[28:29], s[14:15], -v[12:13]
	v_fma_f64 v[12:13], v[28:29], s[14:15], v[12:13]
	v_add_f64 v[16:17], v[16:17], v[112:113]
	v_fma_f64 v[112:113], v[36:37], s[20:21], v[158:159]
	v_add_f64 v[12:13], v[12:13], v[196:197]
	v_add_f64 v[16:17], v[66:67], v[16:17]
	v_fma_f64 v[66:67], v[44:45], s[28:29], -v[134:135]
	v_add_f64 v[16:17], v[66:67], v[16:17]
	v_fma_f64 v[66:67], v[46:47], s[22:23], -v[138:139]
	;; [unrolled: 2-line block ×3, first 2 shown]
	v_add_f64 v[16:17], v[66:67], v[16:17]
	v_fma_f64 v[66:67], v[38:39], s[14:15], v[156:157]
	v_add_f64 v[66:67], v[66:67], v[239:240]
	v_add_f64 v[66:67], v[112:113], v[66:67]
	v_fma_f64 v[112:113], v[34:35], s[28:29], v[164:165]
	v_add_f64 v[66:67], v[112:113], v[66:67]
	v_fma_f64 v[112:113], v[32:33], s[22:23], v[166:167]
	;; [unrolled: 2-line block ×3, first 2 shown]
	v_add_f64 v[66:67], v[112:113], v[66:67]
	v_fma_f64 v[112:113], v[48:49], s[8:9], -v[170:171]
	v_add_f64 v[16:17], v[112:113], v[16:17]
	v_fma_f64 v[112:113], v[50:51], s[8:9], v[172:173]
	v_add_f64 v[66:67], v[112:113], v[66:67]
	v_fma_f64 v[112:113], v[52:53], s[4:5], -v[174:175]
	v_add_f64 v[114:115], v[112:113], v[16:17]
	v_mul_f64 v[16:17], v[98:99], s[44:45]
	v_fma_f64 v[112:113], v[54:55], s[4:5], v[16:17]
	v_fma_f64 v[16:17], v[54:55], s[4:5], -v[16:17]
	v_add_f64 v[112:113], v[112:113], v[66:67]
	v_mul_f64 v[66:67], v[62:63], s[36:37]
	v_mul_f64 v[62:63], v[62:63], s[34:35]
	v_fma_f64 v[122:123], v[28:29], s[18:19], -v[66:67]
	v_add_f64 v[116:117], v[122:123], v[116:117]
	v_fma_f64 v[122:123], v[30:31], s[4:5], -v[176:177]
	v_add_f64 v[116:117], v[122:123], v[116:117]
	v_fma_f64 v[122:123], v[44:45], s[22:23], -v[178:179]
	v_add_f64 v[116:117], v[122:123], v[116:117]
	v_fma_f64 v[122:123], v[46:47], s[14:15], -v[180:181]
	v_add_f64 v[116:117], v[122:123], v[116:117]
	v_fma_f64 v[122:123], v[38:39], s[18:19], v[182:183]
	v_add_f64 v[122:123], v[122:123], v[236:237]
	v_add_f64 v[122:123], v[124:125], v[122:123]
	v_fma_f64 v[124:125], v[34:35], s[22:23], v[186:187]
	v_add_f64 v[122:123], v[124:125], v[122:123]
	v_fma_f64 v[124:125], v[42:43], s[6:7], -v[188:189]
	v_add_f64 v[116:117], v[124:125], v[116:117]
	v_fma_f64 v[124:125], v[32:33], s[14:15], v[190:191]
	v_add_f64 v[122:123], v[124:125], v[122:123]
	v_fma_f64 v[124:125], v[48:49], s[28:29], -v[198:199]
	v_add_f64 v[116:117], v[124:125], v[116:117]
	v_fma_f64 v[124:125], v[40:41], s[6:7], v[200:201]
	v_add_f64 v[122:123], v[124:125], v[122:123]
	v_fma_f64 v[124:125], v[50:51], s[28:29], v[202:203]
	v_add_f64 v[122:123], v[124:125], v[122:123]
	v_fma_f64 v[124:125], v[52:53], s[8:9], -v[204:205]
	v_add_f64 v[124:125], v[124:125], v[116:117]
	v_mul_f64 v[116:117], v[98:99], s[24:25]
	v_mul_f64 v[98:99], v[98:99], s[46:47]
	v_fma_f64 v[206:207], v[54:55], s[8:9], v[116:117]
	v_add_f64 v[122:123], v[206:207], v[122:123]
	v_fma_f64 v[206:207], v[28:29], s[20:21], -v[62:63]
	v_fma_f64 v[62:63], v[28:29], s[20:21], v[62:63]
	v_add_f64 v[206:207], v[206:207], v[249:250]
	v_add_f64 v[62:63], v[62:63], v[228:229]
	;; [unrolled: 1-line block ×3, first 2 shown]
	v_fma_f64 v[208:209], v[44:45], s[18:19], -v[90:91]
	v_add_f64 v[62:63], v[68:69], v[62:63]
	v_fma_f64 v[68:69], v[44:45], s[18:19], v[90:91]
	v_fma_f64 v[90:91], v[46:47], s[6:7], v[92:93]
	v_add_f64 v[206:207], v[208:209], v[206:207]
	v_fma_f64 v[208:209], v[46:47], s[6:7], -v[92:93]
	v_add_f64 v[62:63], v[68:69], v[62:63]
	v_fma_f64 v[68:69], v[36:37], s[28:29], -v[210:211]
	;; [unrolled: 2-line block ×3, first 2 shown]
	v_add_f64 v[62:63], v[90:91], v[62:63]
	v_add_f64 v[206:207], v[208:209], v[206:207]
	v_fma_f64 v[208:209], v[48:49], s[14:15], -v[104:105]
	v_add_f64 v[206:207], v[208:209], v[206:207]
	v_mul_f64 v[208:209], v[56:57], s[34:35]
	v_fma_f64 v[56:57], v[38:39], s[20:21], v[208:209]
	v_add_f64 v[56:57], v[56:57], v[251:252]
	v_add_f64 v[56:57], v[58:59], v[56:57]
	v_fma_f64 v[58:59], v[34:35], s[18:19], v[60:61]
	v_fma_f64 v[60:61], v[34:35], s[18:19], -v[60:61]
	v_add_f64 v[56:57], v[58:59], v[56:57]
	v_fma_f64 v[58:59], v[32:33], s[6:7], v[64:65]
	v_fma_f64 v[64:65], v[32:33], s[6:7], -v[64:65]
	v_add_f64 v[56:57], v[58:59], v[56:57]
	v_fma_f64 v[58:59], v[40:41], s[4:5], v[70:71]
	v_add_f64 v[56:57], v[58:59], v[56:57]
	v_fma_f64 v[58:59], v[50:51], s[14:15], v[94:95]
	v_add_f64 v[56:57], v[58:59], v[56:57]
	v_fma_f64 v[58:59], v[52:53], s[22:23], -v[106:107]
	v_add_f64 v[58:59], v[58:59], v[206:207]
	v_fma_f64 v[206:207], v[54:55], s[22:23], v[98:99]
	v_add_f64 v[56:57], v[206:207], v[56:57]
	v_fma_f64 v[206:207], v[38:39], s[20:21], -v[208:209]
	v_add_f64 v[206:207], v[206:207], v[241:242]
	v_add_f64 v[68:69], v[68:69], v[206:207]
	;; [unrolled: 1-line block ×3, first 2 shown]
	v_fma_f64 v[68:69], v[42:43], s[4:5], v[96:97]
	v_add_f64 v[60:61], v[64:65], v[60:61]
	v_fma_f64 v[64:65], v[40:41], s[4:5], -v[70:71]
	v_add_f64 v[62:63], v[68:69], v[62:63]
	v_fma_f64 v[68:69], v[54:55], s[22:23], -v[98:99]
	v_fma_f64 v[70:71], v[54:55], s[8:9], -v[116:117]
	v_add_f64 v[60:61], v[64:65], v[60:61]
	v_fma_f64 v[64:65], v[48:49], s[14:15], v[104:105]
	v_add_f64 v[62:63], v[64:65], v[62:63]
	v_fma_f64 v[64:65], v[50:51], s[14:15], -v[94:95]
	v_add_f64 v[60:61], v[64:65], v[60:61]
	v_fma_f64 v[64:65], v[52:53], s[22:23], v[106:107]
	v_add_f64 v[60:61], v[68:69], v[60:61]
	v_add_f64 v[62:63], v[64:65], v[62:63]
	v_fma_f64 v[64:65], v[28:29], s[18:19], v[66:67]
	v_fma_f64 v[66:67], v[30:31], s[4:5], v[176:177]
	v_fma_f64 v[68:69], v[36:37], s[4:5], -v[184:185]
	v_add_f64 v[64:65], v[64:65], v[234:235]
	v_add_f64 v[64:65], v[66:67], v[64:65]
	v_fma_f64 v[66:67], v[44:45], s[22:23], v[178:179]
	v_add_f64 v[64:65], v[66:67], v[64:65]
	v_fma_f64 v[66:67], v[46:47], s[14:15], v[180:181]
	;; [unrolled: 2-line block ×4, first 2 shown]
	v_add_f64 v[64:65], v[66:67], v[64:65]
	v_fma_f64 v[66:67], v[38:39], s[18:19], -v[182:183]
	v_add_f64 v[66:67], v[66:67], v[243:244]
	v_add_f64 v[66:67], v[68:69], v[66:67]
	v_fma_f64 v[68:69], v[34:35], s[22:23], -v[186:187]
	v_add_f64 v[66:67], v[68:69], v[66:67]
	v_fma_f64 v[68:69], v[32:33], s[14:15], -v[190:191]
	;; [unrolled: 2-line block ×4, first 2 shown]
	v_add_f64 v[68:69], v[68:69], v[66:67]
	v_fma_f64 v[66:67], v[52:53], s[8:9], v[204:205]
	v_add_f64 v[66:67], v[66:67], v[64:65]
	v_add_f64 v[64:65], v[70:71], v[68:69]
	v_fma_f64 v[68:69], v[30:31], s[20:21], v[128:129]
	v_fma_f64 v[70:71], v[36:37], s[20:21], -v[158:159]
	v_add_f64 v[12:13], v[68:69], v[12:13]
	v_fma_f64 v[68:69], v[44:45], s[28:29], v[134:135]
	v_add_f64 v[12:13], v[68:69], v[12:13]
	v_fma_f64 v[68:69], v[46:47], s[22:23], v[138:139]
	;; [unrolled: 2-line block ×3, first 2 shown]
	v_add_f64 v[12:13], v[68:69], v[12:13]
	v_fma_f64 v[68:69], v[38:39], s[14:15], -v[156:157]
	v_add_f64 v[68:69], v[68:69], v[194:195]
	v_add_f64 v[68:69], v[70:71], v[68:69]
	v_fma_f64 v[70:71], v[34:35], s[28:29], -v[164:165]
	v_add_f64 v[68:69], v[70:71], v[68:69]
	v_fma_f64 v[70:71], v[32:33], s[22:23], -v[166:167]
	;; [unrolled: 2-line block ×3, first 2 shown]
	v_add_f64 v[68:69], v[70:71], v[68:69]
	v_fma_f64 v[70:71], v[48:49], s[8:9], v[170:171]
	v_add_f64 v[12:13], v[70:71], v[12:13]
	v_fma_f64 v[70:71], v[50:51], s[8:9], -v[172:173]
	v_add_f64 v[68:69], v[70:71], v[68:69]
	v_fma_f64 v[70:71], v[52:53], s[4:5], v[174:175]
	v_add_f64 v[68:69], v[16:17], v[68:69]
	v_add_f64 v[70:71], v[70:71], v[12:13]
	v_fma_f64 v[12:13], v[28:29], s[4:5], v[14:15]
	v_fma_f64 v[14:15], v[38:39], s[4:5], -v[126:127]
	v_fma_f64 v[16:17], v[30:31], s[22:23], v[130:131]
	v_fma_f64 v[28:29], v[36:37], s[22:23], -v[132:133]
	v_fma_f64 v[30:31], v[44:45], s[6:7], v[136:137]
	v_add_f64 v[12:13], v[12:13], v[150:151]
	v_add_f64 v[14:15], v[14:15], v[192:193]
	;; [unrolled: 1-line block ×3, first 2 shown]
	v_fma_f64 v[16:17], v[34:35], s[6:7], -v[140:141]
	v_add_f64 v[14:15], v[28:29], v[14:15]
	v_fma_f64 v[28:29], v[46:47], s[20:21], v[142:143]
	v_add_f64 v[12:13], v[30:31], v[12:13]
	v_fma_f64 v[30:31], v[32:33], s[20:21], -v[144:145]
	v_add_f64 v[14:15], v[16:17], v[14:15]
	v_fma_f64 v[16:17], v[42:43], s[8:9], v[146:147]
	v_add_f64 v[12:13], v[28:29], v[12:13]
	;; [unrolled: 4-line block ×4, first 2 shown]
	v_add_f64 v[14:15], v[16:17], v[14:15]
	v_lshrrev_b32_e32 v16, 1, v74
	v_mul_u32_u24_e32 v16, 34, v16
	v_or_b32_e32 v16, v16, v86
	v_lshlrev_b32_e32 v16, 4, v16
	v_add_f64 v[30:31], v[28:29], v[12:13]
	v_add3_u32 v12, 0, v16, v84
	ds_write_b128 v12, v[100:103]
	ds_write_b128 v12, v[118:121] offset:32
	ds_write_b128 v12, v[8:11] offset:64
	;; [unrolled: 1-line block ×7, first 2 shown]
	s_clause 0x3
	buffer_load_dword v8, off, s[60:63], 0 offset:16
	buffer_load_dword v9, off, s[60:63], 0 offset:20
	;; [unrolled: 1-line block ×4, first 2 shown]
	v_add_f64 v[28:29], v[18:19], v[14:15]
	s_waitcnt vmcnt(0)
	ds_write_b128 v12, v[8:11] offset:256
	s_clause 0x3
	buffer_load_dword v8, off, s[60:63], 0
	buffer_load_dword v9, off, s[60:63], 0 offset:4
	buffer_load_dword v10, off, s[60:63], 0 offset:8
	;; [unrolled: 1-line block ×3, first 2 shown]
	s_waitcnt vmcnt(0)
	ds_write_b128 v12, v[8:11] offset:288
	ds_write_b128 v12, v[20:23] offset:320
	;; [unrolled: 1-line block ×8, first 2 shown]
.LBB0_18:
	s_or_b32 exec_lo, exec_lo, s33
	v_lshlrev_b32_e32 v20, 4, v87
	v_lshlrev_b32_e32 v8, 4, v79
	;; [unrolled: 1-line block ×5, first 2 shown]
	v_add3_u32 v94, 0, v20, v84
	v_lshlrev_b32_e32 v20, 4, v83
	v_add3_u32 v88, 0, v8, v84
	v_add3_u32 v86, 0, v9, v84
	;; [unrolled: 1-line block ×3, first 2 shown]
	s_waitcnt lgkmcnt(0)
	s_waitcnt_vscnt null, 0x0
	v_add3_u32 v92, 0, v20, v84
	s_barrier
	buffer_gl0_inv
	ds_read_b128 v[8:11], v82
	ds_read_b128 v[36:39], v80 offset:8160
	ds_read_b128 v[16:19], v88
	ds_read_b128 v[12:15], v86
	ds_read_b128 v[44:47], v80 offset:9248
	ds_read_b128 v[40:43], v80 offset:10336
	v_add3_u32 v95, 0, v22, v84
	ds_read_b128 v[28:31], v94
	ds_read_b128 v[20:23], v93
	ds_read_b128 v[56:59], v80 offset:11424
	ds_read_b128 v[48:51], v80 offset:12512
	ds_read_b128 v[32:35], v92
	ds_read_b128 v[24:27], v95
	ds_read_b128 v[60:63], v80 offset:13600
	ds_read_b128 v[52:55], v80 offset:14688
	v_lshlrev_b32_e32 v64, 4, v78
	s_and_saveexec_b32 s1, s0
	s_cbranch_execz .LBB0_20
; %bb.19:
	v_add3_u32 v0, 0, v64, v84
	ds_read_b128 v[0:3], v0
	ds_read_b128 v[4:7], v80 offset:15776
.LBB0_20:
	s_or_b32 exec_lo, exec_lo, s1
	v_and_b32_e32 v65, 0xff, v79
	v_subrev_nc_u32_e32 v66, 34, v74
	v_and_b32_e32 v67, 0xff, v89
	v_mov_b32_e32 v68, 0xf0f1
	v_mov_b32_e32 v91, 0
	v_mul_lo_u16 v65, 0xf1, v65
	v_cndmask_b32_e64 v90, v66, v74, s0
	v_mul_lo_u16 v71, 0xf1, v67
	v_mul_u32_u24_sdwa v97, v83, v68 dst_sel:DWORD dst_unused:UNUSED_PAD src0_sel:WORD_0 src1_sel:DWORD
	v_mul_u32_u24_sdwa v66, v87, v68 dst_sel:DWORD dst_unused:UNUSED_PAD src0_sel:WORD_0 src1_sel:DWORD
	v_lshrrev_b16 v137, 13, v65
	v_lshlrev_b64 v[69:70], 4, v[90:91]
	v_lshrrev_b16 v71, 13, v71
	v_mov_b32_e32 v96, 4
	v_mul_u32_u24_sdwa v65, v85, v68 dst_sel:DWORD dst_unused:UNUSED_PAD src0_sel:WORD_0 src1_sel:DWORD
	v_mul_lo_u16 v99, v137, 34
	v_lshrrev_b32_e32 v140, 21, v97
	v_lshrrev_b32_e32 v138, 21, v66
	v_mul_u32_u24_sdwa v98, v81, v68 dst_sel:DWORD dst_unused:UNUSED_PAD src0_sel:WORD_0 src1_sel:DWORD
	v_add_co_u32 v69, s1, s12, v69
	v_sub_nc_u16 v97, v79, v99
	v_add_co_ci_u32_e64 v70, s1, s13, v70, s1
	v_mul_lo_u16 v105, v71, 34
	v_lshrrev_b32_e32 v139, 21, v65
	v_lshlrev_b32_sdwa v141, v96, v97 dst_sel:DWORD dst_unused:UNUSED_PAD src0_sel:DWORD src1_sel:BYTE_0
	v_mul_lo_u16 v106, v138, 34
	v_lshrrev_b32_e32 v142, 21, v98
	s_clause 0x1
	global_load_dwordx4 v[97:100], v[69:70], off offset:512
	global_load_dwordx4 v[101:104], v141, s[12:13] offset:512
	v_sub_nc_u16 v70, v89, v105
	v_mul_lo_u16 v69, v139, 34
	v_mul_lo_u16 v105, v140, 34
	v_sub_nc_u16 v106, v87, v106
	v_mul_lo_u16 v107, v142, 34
	v_lshlrev_b32_sdwa v143, v96, v70 dst_sel:DWORD dst_unused:UNUSED_PAD src0_sel:DWORD src1_sel:BYTE_0
	v_sub_nc_u16 v69, v85, v69
	v_sub_nc_u16 v70, v83, v105
	v_lshlrev_b32_sdwa v144, v96, v106 dst_sel:DWORD dst_unused:UNUSED_PAD src0_sel:DWORD src1_sel:WORD_0
	v_sub_nc_u16 v113, v81, v107
	global_load_dwordx4 v[105:108], v143, s[12:13] offset:512
	v_lshlrev_b32_sdwa v145, v96, v69 dst_sel:DWORD dst_unused:UNUSED_PAD src0_sel:DWORD src1_sel:WORD_0
	v_lshlrev_b32_sdwa v146, v96, v70 dst_sel:DWORD dst_unused:UNUSED_PAD src0_sel:DWORD src1_sel:WORD_0
	global_load_dwordx4 v[109:112], v144, s[12:13] offset:512
	v_lshlrev_b32_sdwa v147, v96, v113 dst_sel:DWORD dst_unused:UNUSED_PAD src0_sel:DWORD src1_sel:WORD_0
	s_clause 0x2
	global_load_dwordx4 v[113:116], v145, s[12:13] offset:512
	global_load_dwordx4 v[117:120], v146, s[12:13] offset:512
	global_load_dwordx4 v[121:124], v147, s[12:13] offset:512
	v_cmp_lt_u32_e64 s1, 33, v74
	s_waitcnt vmcnt(0) lgkmcnt(0)
	s_barrier
	buffer_gl0_inv
	v_cndmask_b32_e64 v148, 0, 0x440, s1
	v_mul_f64 v[69:70], v[38:39], v[99:100]
	v_mul_f64 v[99:100], v[36:37], v[99:100]
	;; [unrolled: 1-line block ×14, first 2 shown]
	v_fma_f64 v[69:70], v[36:37], v[97:98], v[69:70]
	v_fma_f64 v[97:98], v[38:39], v[97:98], -v[99:100]
	v_fma_f64 v[44:45], v[44:45], v[101:102], v[125:126]
	v_fma_f64 v[46:47], v[46:47], v[101:102], -v[103:104]
	v_add_nc_u32_e32 v37, 0, v148
	v_lshlrev_b32_e32 v38, 4, v90
	v_lshlrev_b32_e32 v36, 1, v74
	v_add3_u32 v90, v37, v38, v84
	v_fma_f64 v[99:100], v[40:41], v[105:106], v[127:128]
	v_fma_f64 v[101:102], v[42:43], v[105:106], -v[107:108]
	v_fma_f64 v[56:57], v[56:57], v[109:110], v[129:130]
	v_fma_f64 v[58:59], v[58:59], v[109:110], -v[111:112]
	v_fma_f64 v[103:104], v[48:49], v[113:114], v[131:132]
	v_fma_f64 v[105:106], v[50:51], v[113:114], -v[115:116]
	v_fma_f64 v[60:61], v[60:61], v[117:118], v[133:134]
	v_fma_f64 v[62:63], v[62:63], v[117:118], -v[119:120]
	v_fma_f64 v[107:108], v[52:53], v[121:122], v[135:136]
	v_fma_f64 v[109:110], v[54:55], v[121:122], -v[123:124]
	v_add_f64 v[37:38], v[8:9], -v[69:70]
	v_add_f64 v[39:40], v[10:11], -v[97:98]
	;; [unrolled: 1-line block ×4, first 2 shown]
	v_mad_u32_u24 v69, 0x440, v139, 0
	v_mad_u32_u24 v70, 0x440, v140, 0
	v_add3_u32 v69, v69, v145, v84
	v_add3_u32 v70, v70, v146, v84
	v_add_f64 v[45:46], v[12:13], -v[99:100]
	v_add_f64 v[47:48], v[14:15], -v[101:102]
	;; [unrolled: 1-line block ×10, first 2 shown]
	v_fma_f64 v[8:9], v[8:9], 2.0, -v[37:38]
	v_fma_f64 v[10:11], v[10:11], 2.0, -v[39:40]
	;; [unrolled: 1-line block ×4, first 2 shown]
	v_and_b32_e32 v61, 0xffff, v137
	v_and_b32_e32 v62, 0xffff, v71
	v_mad_u32_u24 v63, 0x440, v138, 0
	v_mad_u32_u24 v71, 0x440, v142, 0
	;; [unrolled: 1-line block ×4, first 2 shown]
	v_fma_f64 v[12:13], v[12:13], 2.0, -v[45:46]
	v_fma_f64 v[14:15], v[14:15], 2.0, -v[47:48]
	v_add3_u32 v63, v63, v144, v84
	v_fma_f64 v[28:29], v[28:29], 2.0, -v[49:50]
	v_fma_f64 v[30:31], v[30:31], 2.0, -v[51:52]
	;; [unrolled: 1-line block ×8, first 2 shown]
	v_add3_u32 v61, v61, v141, v84
	v_add3_u32 v62, v62, v143, v84
	v_add3_u32 v71, v71, v147, v84
	ds_write_b128 v90, v[37:40] offset:544
	ds_write_b128 v90, v[8:11]
	ds_write_b128 v61, v[41:44] offset:544
	ds_write_b128 v61, v[16:19]
	ds_write_b128 v62, v[12:15]
	ds_write_b128 v62, v[45:48] offset:544
	ds_write_b128 v63, v[28:31]
	ds_write_b128 v63, v[49:52] offset:544
	;; [unrolled: 2-line block ×5, first 2 shown]
	s_and_saveexec_b32 s1, s0
	s_cbranch_execz .LBB0_22
; %bb.21:
	v_mul_u32_u24_sdwa v8, v78, v68 dst_sel:DWORD dst_unused:UNUSED_PAD src0_sel:WORD_0 src1_sel:DWORD
	v_lshrrev_b32_e32 v8, 21, v8
	v_mul_lo_u16 v8, v8, 34
	v_sub_nc_u16 v8, v78, v8
	v_lshlrev_b32_sdwa v14, v96, v8 dst_sel:DWORD dst_unused:UNUSED_PAD src0_sel:DWORD src1_sel:WORD_0
	global_load_dwordx4 v[8:11], v14, s[12:13] offset:512
	s_waitcnt vmcnt(0)
	v_mul_f64 v[12:13], v[4:5], v[10:11]
	v_mul_f64 v[10:11], v[6:7], v[10:11]
	v_fma_f64 v[6:7], v[6:7], v[8:9], -v[12:13]
	v_fma_f64 v[4:5], v[4:5], v[8:9], v[10:11]
	v_add3_u32 v8, 0, v14, v84
	v_add_f64 v[6:7], v[2:3], -v[6:7]
	v_add_f64 v[4:5], v[0:1], -v[4:5]
	v_fma_f64 v[2:3], v[2:3], 2.0, -v[6:7]
	v_fma_f64 v[0:1], v[0:1], 2.0, -v[4:5]
	ds_write_b128 v8, v[0:3] offset:15232
	ds_write_b128 v8, v[4:7] offset:15776
.LBB0_22:
	s_or_b32 exec_lo, exec_lo, s1
	v_mov_b32_e32 v37, v91
	v_lshrrev_b32_e32 v3, 22, v66
	v_mul_lo_u16 v2, 0x79, v67
	v_lshrrev_b32_e32 v5, 22, v65
	s_waitcnt lgkmcnt(0)
	v_lshlrev_b64 v[0:1], 4, v[36:37]
	v_mul_lo_u16 v3, 0x44, v3
	v_lshrrev_b16 v2, 13, v2
	s_barrier
	buffer_gl0_inv
	v_mov_b32_e32 v4, 5
	v_add_co_u32 v0, s1, s12, v0
	v_add_co_ci_u32_e64 v1, s1, s13, v1, s1
	v_sub_nc_u16 v99, v87, v3
	v_lshlrev_b32_e32 v90, 2, v74
	v_add3_u32 v97, 0, v64, v84
	s_clause 0x1
	global_load_dwordx4 v[20:23], v[0:1], off offset:1072
	global_load_dwordx4 v[24:27], v[0:1], off offset:1056
	v_mul_lo_u16 v0, 0x44, v5
	v_mul_lo_u16 v1, 0x44, v2
	v_lshlrev_b64 v[121:122], 4, v[90:91]
	v_lshlrev_b32_e32 v90, 2, v79
	v_lshlrev_b32_sdwa v125, v96, v99 dst_sel:DWORD dst_unused:UNUSED_PAD src0_sel:DWORD src1_sel:WORD_0
	v_sub_nc_u16 v100, v85, v0
	v_lshlrev_b32_sdwa v0, v4, v99 dst_sel:DWORD dst_unused:UNUSED_PAD src0_sel:DWORD src1_sel:WORD_0
	v_sub_nc_u16 v98, v89, v1
	v_add_co_u32 v121, s1, s12, v121
	v_lshlrev_b32_sdwa v1, v4, v100 dst_sel:DWORD dst_unused:UNUSED_PAD src0_sel:DWORD src1_sel:WORD_0
	s_clause 0x1
	global_load_dwordx4 v[32:35], v0, s[12:13] offset:1056
	global_load_dwordx4 v[28:31], v0, s[12:13] offset:1072
	v_lshlrev_b32_sdwa v0, v4, v98 dst_sel:DWORD dst_unused:UNUSED_PAD src0_sel:DWORD src1_sel:BYTE_0
	v_add_co_ci_u32_e64 v122, s1, s13, v122, s1
	s_clause 0x3
	global_load_dwordx4 v[48:51], v1, s[12:13] offset:1056
	global_load_dwordx4 v[44:47], v1, s[12:13] offset:1072
	;; [unrolled: 1-line block ×4, first 2 shown]
	ds_read_b128 v[68:71], v92
	ds_read_b128 v[56:59], v95
	;; [unrolled: 1-line block ×4, first 2 shown]
	ds_read_b128 v[64:67], v80 offset:11968
	ds_read_b128 v[52:55], v80 offset:13056
	ds_read_b128 v[16:19], v82
	ds_read_b128 v[60:63], v80 offset:8704
	ds_read_b128 v[12:15], v94
	ds_read_b128 v[8:11], v93
	ds_read_b128 v[101:104], v80 offset:10880
	ds_read_b128 v[105:108], v80 offset:9792
	;; [unrolled: 1-line block ×4, first 2 shown]
	ds_read_b128 v[117:120], v97
	v_lshlrev_b64 v[123:124], 4, v[90:91]
	v_add_co_u32 v99, s1, 0xca0, v121
	v_lshlrev_b32_sdwa v126, v96, v100 dst_sel:DWORD dst_unused:UNUSED_PAD src0_sel:DWORD src1_sel:WORD_0
	v_add_co_ci_u32_e64 v100, s1, 0, v122, s1
	v_add_co_u32 v121, s1, 0x800, v121
	v_add_co_ci_u32_e64 v122, s1, 0, v122, s1
	v_add_co_u32 v149, s1, s12, v123
	v_add_co_ci_u32_e64 v150, s1, s13, v124, s1
	v_lshlrev_b32_sdwa v96, v96, v98 dst_sel:DWORD dst_unused:UNUSED_PAD src0_sel:DWORD src1_sel:BYTE_0
	v_add3_u32 v98, 0, v125, v84
	v_add3_u32 v151, 0, v126, v84
	s_mov_b32 s4, 0xe8584caa
	s_mov_b32 s5, 0xbfebb67a
	;; [unrolled: 1-line block ×4, first 2 shown]
	v_lshlrev_b32_e32 v90, 2, v89
	v_add_co_u32 v135, s1, 0xca0, v149
	v_add_co_ci_u32_e64 v136, s1, 0, v150, s1
	v_lshlrev_b64 v[90:91], 4, v[90:91]
	s_waitcnt vmcnt(0) lgkmcnt(0)
	s_barrier
	buffer_gl0_inv
	s_mov_b32 s8, 0x134454ff
	s_mov_b32 s9, 0xbfee6f0e
	;; [unrolled: 1-line block ×5, first 2 shown]
	v_mul_f64 v[127:128], v[103:104], v[22:23]
	v_mul_f64 v[123:124], v[70:71], v[26:27]
	;; [unrolled: 1-line block ×20, first 2 shown]
	v_fma_f64 v[68:69], v[68:69], v[24:25], v[123:124]
	v_fma_f64 v[70:71], v[70:71], v[24:25], -v[125:126]
	v_fma_f64 v[101:102], v[101:102], v[20:21], v[127:128]
	v_fma_f64 v[103:104], v[103:104], v[20:21], -v[129:130]
	;; [unrolled: 2-line block ×4, first 2 shown]
	v_add_co_u32 v64, s1, 0x800, v149
	v_fma_f64 v[22:23], v[60:61], v[32:33], v[137:138]
	v_fma_f64 v[32:33], v[62:63], v[32:33], -v[34:35]
	v_fma_f64 v[34:35], v[109:110], v[28:29], v[139:140]
	v_fma_f64 v[28:29], v[111:112], v[28:29], -v[30:31]
	v_fma_f64 v[30:31], v[105:106], v[48:49], v[141:142]
	v_fma_f64 v[48:49], v[107:108], v[48:49], -v[50:51]
	v_fma_f64 v[50:51], v[113:114], v[44:45], v[143:144]
	v_fma_f64 v[44:45], v[115:116], v[44:45], -v[46:47]
	v_fma_f64 v[46:47], v[117:118], v[40:41], v[145:146]
	v_fma_f64 v[40:41], v[119:120], v[40:41], -v[42:43]
	v_fma_f64 v[42:43], v[52:53], v[36:37], v[147:148]
	v_fma_f64 v[36:37], v[54:55], v[36:37], -v[38:39]
	v_add_f64 v[38:39], v[16:17], v[68:69]
	v_add_f64 v[58:59], v[18:19], v[70:71]
	;; [unrolled: 1-line block ×4, first 2 shown]
	v_add_f64 v[54:55], v[70:71], -v[103:104]
	v_add_f64 v[62:63], v[68:69], -v[101:102]
	v_add_f64 v[68:69], v[56:57], v[26:27]
	v_add_f64 v[70:71], v[24:25], -v[20:21]
	v_add_f64 v[105:106], v[6:7], v[24:25]
	v_add_f64 v[24:25], v[24:25], v[20:21]
	;; [unrolled: 1-line block ×5, first 2 shown]
	v_add_f64 v[111:112], v[32:33], -v[28:29]
	v_add_f64 v[32:33], v[32:33], v[28:29]
	v_add_f64 v[107:108], v[12:13], v[22:23]
	v_add_f64 v[115:116], v[22:23], -v[34:35]
	v_add_f64 v[22:23], v[30:31], v[50:51]
	v_add_f64 v[119:120], v[48:49], v[44:45]
	;; [unrolled: 1-line block ×5, first 2 shown]
	v_add_f64 v[133:134], v[40:41], -v[36:37]
	v_add_f64 v[56:57], v[56:57], -v[26:27]
	v_fma_f64 v[52:53], v[52:53], -0.5, v[16:17]
	v_fma_f64 v[40:41], v[60:61], -0.5, v[18:19]
	v_add_f64 v[117:118], v[8:9], v[30:31]
	v_add_f64 v[129:130], v[30:31], -v[50:51]
	v_add_f64 v[30:31], v[0:1], v[46:47]
	v_add_f64 v[60:61], v[46:47], -v[42:43]
	v_fma_f64 v[46:47], v[68:69], -0.5, v[4:5]
	v_add_f64 v[4:5], v[38:39], v[101:102]
	v_fma_f64 v[38:39], v[24:25], -0.5, v[6:7]
	v_add_f64 v[123:124], v[48:49], -v[44:45]
	v_add_f64 v[48:49], v[10:11], v[48:49]
	v_add_f64 v[6:7], v[58:59], v[103:104]
	v_fma_f64 v[58:59], v[109:110], -0.5, v[12:13]
	v_add_f64 v[12:13], v[66:67], v[26:27]
	v_fma_f64 v[66:67], v[32:33], -0.5, v[14:15]
	v_fma_f64 v[68:69], v[22:23], -0.5, v[8:9]
	;; [unrolled: 1-line block ×3, first 2 shown]
	v_add_f64 v[14:15], v[105:106], v[20:21]
	v_fma_f64 v[103:104], v[125:126], -0.5, v[0:1]
	v_fma_f64 v[105:106], v[127:128], -0.5, v[2:3]
	v_add_f64 v[10:11], v[113:114], v[28:29]
	v_add_f64 v[8:9], v[107:108], v[34:35]
	v_fma_f64 v[20:21], v[54:55], s[4:5], v[52:53]
	v_fma_f64 v[22:23], v[62:63], s[6:7], v[40:41]
	v_fma_f64 v[24:25], v[54:55], s[6:7], v[52:53]
	v_fma_f64 v[26:27], v[62:63], s[4:5], v[40:41]
	v_add_f64 v[16:17], v[30:31], v[42:43]
	v_add_f64 v[18:19], v[131:132], v[36:37]
	v_fma_f64 v[28:29], v[70:71], s[4:5], v[46:47]
	v_fma_f64 v[32:33], v[70:71], s[6:7], v[46:47]
	v_fma_f64 v[30:31], v[56:57], s[6:7], v[38:39]
	v_fma_f64 v[34:35], v[56:57], s[4:5], v[38:39]
	;; [unrolled: 6-line block ×3, first 2 shown]
	v_fma_f64 v[44:45], v[123:124], s[4:5], v[68:69]
	v_fma_f64 v[46:47], v[129:130], s[6:7], v[101:102]
	;; [unrolled: 1-line block ×8, first 2 shown]
	v_add_co_ci_u32_e64 v65, s1, 0, v150, s1
	v_add_co_u32 v60, s1, s12, v90
	v_add_co_ci_u32_e64 v61, s1, s13, v91, s1
	v_add3_u32 v62, 0, v96, v84
	ds_write_b128 v80, v[4:7]
	ds_write_b128 v80, v[12:15] offset:3264
	ds_write_b128 v80, v[20:23] offset:1088
	;; [unrolled: 1-line block ×14, first 2 shown]
	s_waitcnt lgkmcnt(0)
	s_barrier
	buffer_gl0_inv
	s_clause 0x2
	global_load_dwordx4 v[0:3], v[121:122], off offset:1184
	global_load_dwordx4 v[4:7], v[99:100], off offset:32
	;; [unrolled: 1-line block ×3, first 2 shown]
	v_add_co_u32 v32, s1, 0x800, v60
	s_clause 0x3
	global_load_dwordx4 v[12:15], v[99:100], off offset:48
	global_load_dwordx4 v[16:19], v[64:65], off offset:1184
	;; [unrolled: 1-line block ×4, first 2 shown]
	v_add_co_ci_u32_e64 v33, s1, 0, v61, s1
	v_add_co_u32 v44, s1, 0xca0, v60
	v_add_co_ci_u32_e64 v45, s1, 0, v61, s1
	s_clause 0x4
	global_load_dwordx4 v[28:31], v[135:136], off offset:48
	global_load_dwordx4 v[32:35], v[32:33], off offset:1184
	global_load_dwordx4 v[36:39], v[44:45], off offset:16
	global_load_dwordx4 v[40:43], v[44:45], off offset:32
	global_load_dwordx4 v[44:47], v[44:45], off offset:48
	ds_read_b128 v[48:51], v94
	ds_read_b128 v[52:55], v95
	ds_read_b128 v[56:59], v80 offset:9792
	ds_read_b128 v[60:63], v80 offset:13056
	ds_read_b128 v[64:67], v93
	ds_read_b128 v[68:71], v97
	ds_read_b128 v[93:96], v80 offset:10880
	ds_read_b128 v[97:100], v80 offset:14144
	;; [unrolled: 4-line block ×3, first 2 shown]
	ds_read_b128 v[117:120], v80 offset:15232
	s_mov_b32 s6, 0x4755a5e
	s_mov_b32 s7, 0xbfe2cf23
	;; [unrolled: 1-line block ×5, first 2 shown]
	s_waitcnt vmcnt(11) lgkmcnt(12)
	v_mul_f64 v[90:91], v[50:51], v[2:3]
	v_mul_f64 v[2:3], v[48:49], v[2:3]
	s_waitcnt vmcnt(9) lgkmcnt(11)
	v_mul_f64 v[121:122], v[54:55], v[10:11]
	v_mul_f64 v[10:11], v[52:53], v[10:11]
	s_waitcnt lgkmcnt(10)
	v_mul_f64 v[123:124], v[58:59], v[6:7]
	v_mul_f64 v[6:7], v[56:57], v[6:7]
	s_waitcnt vmcnt(8) lgkmcnt(9)
	v_mul_f64 v[125:126], v[62:63], v[14:15]
	v_mul_f64 v[14:15], v[60:61], v[14:15]
	s_waitcnt vmcnt(7) lgkmcnt(8)
	;; [unrolled: 3-line block ×3, first 2 shown]
	v_mul_f64 v[129:130], v[70:71], v[26:27]
	v_mul_f64 v[26:27], v[68:69], v[26:27]
	s_waitcnt lgkmcnt(6)
	v_mul_f64 v[131:132], v[95:96], v[22:23]
	v_mul_f64 v[22:23], v[93:94], v[22:23]
	s_waitcnt vmcnt(4) lgkmcnt(5)
	v_mul_f64 v[133:134], v[99:100], v[30:31]
	v_mul_f64 v[30:31], v[97:98], v[30:31]
	s_waitcnt vmcnt(3) lgkmcnt(4)
	;; [unrolled: 3-line block ×5, first 2 shown]
	v_mul_f64 v[141:142], v[119:120], v[46:47]
	v_mul_f64 v[46:47], v[117:118], v[46:47]
	v_fma_f64 v[48:49], v[48:49], v[0:1], v[90:91]
	v_fma_f64 v[50:51], v[50:51], v[0:1], -v[2:3]
	v_fma_f64 v[52:53], v[52:53], v[8:9], v[121:122]
	v_fma_f64 v[8:9], v[54:55], v[8:9], -v[10:11]
	v_fma_f64 v[10:11], v[56:57], v[4:5], v[123:124]
	v_fma_f64 v[54:55], v[58:59], v[4:5], -v[6:7]
	v_fma_f64 v[14:15], v[62:63], v[12:13], -v[14:15]
	v_fma_f64 v[12:13], v[60:61], v[12:13], v[125:126]
	v_fma_f64 v[56:57], v[64:65], v[16:17], v[127:128]
	v_fma_f64 v[16:17], v[66:67], v[16:17], -v[18:19]
	v_fma_f64 v[18:19], v[68:69], v[24:25], v[129:130]
	v_fma_f64 v[24:25], v[70:71], v[24:25], -v[26:27]
	;; [unrolled: 2-line block ×4, first 2 shown]
	ds_read_b128 v[0:3], v88
	ds_read_b128 v[4:7], v86
	v_fma_f64 v[30:31], v[101:102], v[32:33], v[135:136]
	v_fma_f64 v[32:33], v[103:104], v[32:33], -v[34:35]
	v_fma_f64 v[34:35], v[109:110], v[36:37], v[137:138]
	v_fma_f64 v[36:37], v[111:112], v[36:37], -v[38:39]
	;; [unrolled: 2-line block ×4, first 2 shown]
	v_add_f64 v[46:47], v[105:106], v[48:49]
	v_add_f64 v[58:59], v[52:53], v[10:11]
	v_add_f64 v[64:65], v[48:49], -v[52:53]
	v_add_f64 v[92:93], v[107:108], v[50:51]
	v_add_f64 v[66:67], v[12:13], -v[10:11]
	v_add_f64 v[68:69], v[48:49], v[12:13]
	v_add_f64 v[94:95], v[8:9], v[54:55]
	v_add_f64 v[70:71], v[52:53], -v[48:49]
	v_add_f64 v[90:91], v[10:11], -v[12:13]
	v_add_f64 v[102:103], v[50:51], v[14:15]
	v_add_f64 v[98:99], v[50:51], -v[8:9]
	v_add_f64 v[100:101], v[14:15], -v[54:55]
	s_waitcnt lgkmcnt(1)
	v_add_f64 v[111:112], v[0:1], v[56:57]
	v_add_f64 v[113:114], v[18:19], v[26:27]
	;; [unrolled: 1-line block ×6, first 2 shown]
	v_add_f64 v[60:61], v[50:51], -v[14:15]
	v_add_f64 v[50:51], v[8:9], -v[50:51]
	;; [unrolled: 1-line block ×7, first 2 shown]
	s_waitcnt lgkmcnt(0)
	v_add_f64 v[143:144], v[4:5], v[30:31]
	v_add_f64 v[145:146], v[34:35], v[38:39]
	v_add_f64 v[161:162], v[6:7], v[32:33]
	v_add_f64 v[163:164], v[36:37], v[40:41]
	v_add_f64 v[155:156], v[30:31], v[42:43]
	v_add_f64 v[171:172], v[32:33], v[44:45]
	v_add_f64 v[62:63], v[8:9], -v[54:55]
	v_add_f64 v[48:49], v[48:49], -v[12:13]
	;; [unrolled: 1-line block ×9, first 2 shown]
	v_add_f64 v[46:47], v[46:47], v[52:53]
	v_fma_f64 v[52:53], v[58:59], -0.5, v[105:106]
	v_add_f64 v[58:59], v[64:65], v[66:67]
	v_fma_f64 v[64:65], v[68:69], -0.5, v[105:106]
	;; [unrolled: 2-line block ×4, first 2 shown]
	v_add_f64 v[117:118], v[24:25], -v[20:21]
	v_add_f64 v[125:126], v[18:19], -v[56:57]
	;; [unrolled: 1-line block ×4, first 2 shown]
	v_add_f64 v[70:71], v[98:99], v[100:101]
	v_add_f64 v[18:19], v[111:112], v[18:19]
	v_fma_f64 v[92:93], v[113:114], -0.5, v[0:1]
	v_add_f64 v[24:25], v[129:130], v[24:25]
	v_fma_f64 v[100:101], v[131:132], -0.5, v[2:3]
	v_add_f64 v[127:128], v[26:27], -v[22:23]
	v_fma_f64 v[0:1], v[123:124], -0.5, v[0:1]
	v_fma_f64 v[2:3], v[139:140], -0.5, v[2:3]
	v_add_f64 v[149:150], v[36:37], -v[40:41]
	v_add_f64 v[151:152], v[30:31], -v[34:35]
	;; [unrolled: 1-line block ×5, first 2 shown]
	v_add_f64 v[50:51], v[50:51], v[109:110]
	v_add_f64 v[104:105], v[16:17], v[141:142]
	;; [unrolled: 1-line block ×3, first 2 shown]
	v_fma_f64 v[34:35], v[145:146], -0.5, v[4:5]
	v_add_f64 v[36:37], v[161:162], v[36:37]
	v_fma_f64 v[110:111], v[163:164], -0.5, v[6:7]
	v_add_f64 v[137:138], v[28:29], -v[20:21]
	v_fma_f64 v[4:5], v[155:156], -0.5, v[4:5]
	v_fma_f64 v[6:7], v[171:172], -0.5, v[6:7]
	v_add_f64 v[94:95], v[119:120], v[121:122]
	v_add_f64 v[119:120], v[32:33], v[173:174]
	v_add_f64 v[10:11], v[46:47], v[10:11]
	v_fma_f64 v[32:33], v[60:61], s[8:9], v[52:53]
	v_add_f64 v[8:9], v[8:9], v[54:55]
	v_fma_f64 v[54:55], v[48:49], s[16:17], v[68:69]
	v_fma_f64 v[46:47], v[60:61], s[16:17], v[52:53]
	;; [unrolled: 1-line block ×7, first 2 shown]
	v_add_f64 v[18:19], v[18:19], v[26:27]
	v_fma_f64 v[26:27], v[115:116], s[8:9], v[92:93]
	v_fma_f64 v[92:93], v[115:116], s[16:17], v[92:93]
	v_add_f64 v[20:21], v[24:25], v[20:21]
	v_fma_f64 v[24:25], v[56:57], s[16:17], v[100:101]
	v_add_f64 v[98:99], v[125:126], v[127:128]
	v_fma_f64 v[123:124], v[117:118], s[16:17], v[0:1]
	v_fma_f64 v[100:101], v[56:57], s[8:9], v[100:101]
	;; [unrolled: 1-line block ×5, first 2 shown]
	v_add_f64 v[153:154], v[42:43], -v[38:39]
	v_add_f64 v[159:160], v[38:39], -v[42:43]
	;; [unrolled: 1-line block ×3, first 2 shown]
	v_add_f64 v[16:17], v[16:17], v[38:39]
	v_fma_f64 v[38:39], v[147:148], s[8:9], v[34:35]
	v_add_f64 v[36:37], v[36:37], v[40:41]
	v_fma_f64 v[40:41], v[30:31], s[16:17], v[110:111]
	;; [unrolled: 2-line block ×3, first 2 shown]
	v_fma_f64 v[137:138], v[165:166], s[8:9], v[6:7]
	v_fma_f64 v[135:136], v[149:150], s[8:9], v[4:5]
	;; [unrolled: 1-line block ×5, first 2 shown]
	v_add_f64 v[0:1], v[10:11], v[12:13]
	v_fma_f64 v[12:13], v[62:63], s[6:7], v[32:33]
	v_add_f64 v[2:3], v[8:9], v[14:15]
	v_fma_f64 v[14:15], v[96:97], s[14:15], v[54:55]
	v_fma_f64 v[32:33], v[62:63], s[14:15], v[46:47]
	;; [unrolled: 1-line block ×15, first 2 shown]
	v_add_f64 v[106:107], v[151:152], v[153:154]
	v_add_f64 v[112:113], v[167:168], v[169:170]
	v_fma_f64 v[114:115], v[149:150], s[6:7], v[38:39]
	v_fma_f64 v[125:126], v[165:166], s[14:15], v[40:41]
	v_add_f64 v[108:109], v[157:158], v[159:160]
	v_fma_f64 v[121:122], v[147:148], s[6:7], v[131:132]
	v_fma_f64 v[127:128], v[30:31], s[14:15], v[137:138]
	;; [unrolled: 1-line block ×8, first 2 shown]
	v_add_f64 v[4:5], v[18:19], v[22:23]
	v_add_f64 v[6:7], v[20:21], v[28:29]
	v_fma_f64 v[20:21], v[66:67], s[4:5], v[46:47]
	v_fma_f64 v[22:23], v[50:51], s[4:5], v[60:61]
	v_fma_f64 v[24:25], v[66:67], s[4:5], v[52:53]
	v_fma_f64 v[26:27], v[50:51], s[4:5], v[48:49]
	v_add_f64 v[8:9], v[16:17], v[42:43]
	v_fma_f64 v[16:17], v[58:59], s[4:5], v[32:33]
	v_fma_f64 v[18:19], v[70:71], s[4:5], v[54:55]
	v_fma_f64 v[28:29], v[94:95], s[4:5], v[62:63]
	v_fma_f64 v[30:31], v[102:103], s[4:5], v[92:93]
	;; [unrolled: 5-line block ×3, first 2 shown]
	v_fma_f64 v[32:33], v[94:95], s[4:5], v[64:65]
	v_fma_f64 v[34:35], v[102:103], s[4:5], v[96:97]
	;; [unrolled: 1-line block ×10, first 2 shown]
	s_barrier
	buffer_gl0_inv
	ds_write_b128 v80, v[0:3]
	ds_write_b128 v80, v[12:15] offset:3264
	ds_write_b128 v80, v[20:23] offset:6528
	ds_write_b128 v80, v[24:27] offset:9792
	ds_write_b128 v80, v[16:19] offset:13056
	ds_write_b128 v88, v[4:7]
	ds_write_b128 v88, v[28:31] offset:3264
	ds_write_b128 v88, v[36:39] offset:6528
	ds_write_b128 v88, v[40:43] offset:9792
	ds_write_b128 v88, v[32:35] offset:13056
	;; [unrolled: 5-line block ×3, first 2 shown]
	s_waitcnt lgkmcnt(0)
	s_barrier
	buffer_gl0_inv
	ds_read_b128 v[4:7], v82
	v_sub_nc_u32_e32 v10, v238, v75
	s_add_u32 s4, s12, 0x3fa0
	s_addc_u32 s5, s13, 0
	s_mov_b32 s6, exec_lo
                                        ; implicit-def: $vgpr2_vgpr3
                                        ; implicit-def: $vgpr8_vgpr9
	v_cmpx_ne_u32_e32 0, v74
	s_xor_b32 s6, exec_lo, s6
	s_cbranch_execz .LBB0_24
; %bb.23:
	v_mov_b32_e32 v75, 0
	v_lshlrev_b64 v[0:1], 4, v[74:75]
	v_add_co_u32 v0, s1, s4, v0
	v_add_co_ci_u32_e64 v1, s1, s5, v1, s1
	global_load_dwordx4 v[11:14], v[0:1], off
	ds_read_b128 v[0:3], v10 offset:16320
	s_waitcnt lgkmcnt(0)
	v_add_f64 v[8:9], v[4:5], -v[0:1]
	v_add_f64 v[15:16], v[6:7], v[2:3]
	v_add_f64 v[2:3], v[6:7], -v[2:3]
	v_add_f64 v[0:1], v[4:5], v[0:1]
	v_mul_f64 v[6:7], v[8:9], 0.5
	v_mul_f64 v[4:5], v[15:16], 0.5
	;; [unrolled: 1-line block ×3, first 2 shown]
	s_waitcnt vmcnt(0)
	v_mul_f64 v[8:9], v[6:7], v[13:14]
	v_fma_f64 v[15:16], v[4:5], v[13:14], v[2:3]
	v_fma_f64 v[2:3], v[4:5], v[13:14], -v[2:3]
	v_fma_f64 v[17:18], v[0:1], 0.5, v[8:9]
	v_fma_f64 v[0:1], v[0:1], 0.5, -v[8:9]
	v_fma_f64 v[8:9], -v[11:12], v[6:7], v[15:16]
	v_fma_f64 v[2:3], -v[11:12], v[6:7], v[2:3]
	v_fma_f64 v[13:14], v[4:5], v[11:12], v[17:18]
	v_fma_f64 v[0:1], -v[4:5], v[11:12], v[0:1]
                                        ; implicit-def: $vgpr4_vgpr5
	ds_write_b64 v82, v[13:14]
.LBB0_24:
	s_andn2_saveexec_b32 s1, s6
	s_cbranch_execz .LBB0_26
; %bb.25:
	ds_read_b64 v[11:12], v238 offset:8168
	s_waitcnt lgkmcnt(1)
	v_add_f64 v[13:14], v[4:5], v[6:7]
	v_add_f64 v[0:1], v[4:5], -v[6:7]
	v_mov_b32_e32 v8, 0
	v_mov_b32_e32 v9, 0
	;; [unrolled: 1-line block ×4, first 2 shown]
	s_waitcnt lgkmcnt(0)
	v_xor_b32_e32 v12, 0x80000000, v12
	ds_write_b64 v82, v[13:14]
	ds_write_b64 v238, v[11:12] offset:8168
.LBB0_26:
	s_or_b32 exec_lo, exec_lo, s1
	v_mov_b32_e32 v80, 0
	ds_write_b64 v82, v[8:9] offset:8
	v_lshl_add_u32 v27, v79, 4, v238
	ds_write_b128 v10, v[0:3] offset:16320
	v_lshl_add_u32 v28, v89, 4, v238
	s_waitcnt lgkmcnt(2)
	v_lshlrev_b64 v[4:5], 4, v[79:80]
	v_mov_b32_e32 v90, v80
	v_mov_b32_e32 v88, v80
	;; [unrolled: 1-line block ×5, first 2 shown]
	v_add_co_u32 v4, s1, s4, v4
	v_add_co_ci_u32_e64 v5, s1, s5, v5, s1
	v_lshlrev_b64 v[11:12], 4, v[89:90]
	v_lshlrev_b64 v[8:9], 4, v[87:88]
	global_load_dwordx4 v[4:7], v[4:5], off
	v_add_co_u32 v11, s1, s4, v11
	v_add_co_ci_u32_e64 v12, s1, s5, v12, s1
	v_add_co_u32 v8, s1, s4, v8
	v_add_co_ci_u32_e64 v9, s1, s5, v9, s1
	global_load_dwordx4 v[11:14], v[11:12], off
	ds_read_b128 v[0:3], v27
	ds_read_b128 v[15:18], v10 offset:15232
	global_load_dwordx4 v[19:22], v[8:9], off
	s_waitcnt lgkmcnt(0)
	v_add_f64 v[8:9], v[0:1], -v[15:16]
	v_add_f64 v[23:24], v[2:3], v[17:18]
	v_add_f64 v[2:3], v[2:3], -v[17:18]
	v_add_f64 v[0:1], v[0:1], v[15:16]
	v_mul_f64 v[8:9], v[8:9], 0.5
	v_mul_f64 v[17:18], v[23:24], 0.5
	;; [unrolled: 1-line block ×3, first 2 shown]
	s_waitcnt vmcnt(2)
	v_mul_f64 v[15:16], v[8:9], v[6:7]
	v_fma_f64 v[23:24], v[17:18], v[6:7], v[2:3]
	v_fma_f64 v[6:7], v[17:18], v[6:7], -v[2:3]
	v_fma_f64 v[25:26], v[0:1], 0.5, v[15:16]
	v_fma_f64 v[15:16], v[0:1], 0.5, -v[15:16]
	v_fma_f64 v[2:3], -v[4:5], v[8:9], v[23:24]
	v_fma_f64 v[6:7], -v[4:5], v[8:9], v[6:7]
	v_lshlrev_b64 v[8:9], 4, v[85:86]
	v_add_co_u32 v8, s1, s4, v8
	v_add_co_ci_u32_e64 v9, s1, s5, v9, s1
	v_fma_f64 v[0:1], v[17:18], v[4:5], v[25:26]
	v_fma_f64 v[4:5], -v[17:18], v[4:5], v[15:16]
	ds_write_b128 v27, v[0:3]
	ds_write_b128 v10, v[4:7] offset:15232
	ds_read_b128 v[0:3], v28
	ds_read_b128 v[4:7], v10 offset:14144
	global_load_dwordx4 v[15:18], v[8:9], off
	v_lshl_add_u32 v27, v87, 4, v238
	s_waitcnt lgkmcnt(0)
	v_add_f64 v[8:9], v[0:1], -v[4:5]
	v_add_f64 v[23:24], v[2:3], v[6:7]
	v_add_f64 v[2:3], v[2:3], -v[6:7]
	v_add_f64 v[0:1], v[0:1], v[4:5]
	v_mul_f64 v[6:7], v[8:9], 0.5
	v_mul_f64 v[8:9], v[23:24], 0.5
	;; [unrolled: 1-line block ×3, first 2 shown]
	s_waitcnt vmcnt(2)
	v_mul_f64 v[4:5], v[6:7], v[13:14]
	v_fma_f64 v[23:24], v[8:9], v[13:14], v[2:3]
	v_fma_f64 v[13:14], v[8:9], v[13:14], -v[2:3]
	v_fma_f64 v[25:26], v[0:1], 0.5, v[4:5]
	v_fma_f64 v[4:5], v[0:1], 0.5, -v[4:5]
	v_fma_f64 v[2:3], -v[11:12], v[6:7], v[23:24]
	v_fma_f64 v[6:7], -v[11:12], v[6:7], v[13:14]
	v_fma_f64 v[0:1], v[8:9], v[11:12], v[25:26]
	v_fma_f64 v[4:5], -v[8:9], v[11:12], v[4:5]
	v_lshlrev_b64 v[8:9], 4, v[83:84]
	ds_write_b128 v28, v[0:3]
	ds_write_b128 v10, v[4:7] offset:14144
	v_add_co_u32 v8, s1, s4, v8
	ds_read_b128 v[0:3], v27
	ds_read_b128 v[4:7], v10 offset:13056
	v_add_co_ci_u32_e64 v9, s1, s5, v9, s1
	v_lshl_add_u32 v28, v85, 4, v238
	global_load_dwordx4 v[11:14], v[8:9], off
	s_waitcnt lgkmcnt(0)
	v_add_f64 v[8:9], v[0:1], -v[4:5]
	v_add_f64 v[23:24], v[2:3], v[6:7]
	v_add_f64 v[2:3], v[2:3], -v[6:7]
	v_add_f64 v[0:1], v[0:1], v[4:5]
	v_mul_f64 v[6:7], v[8:9], 0.5
	v_mul_f64 v[8:9], v[23:24], 0.5
	;; [unrolled: 1-line block ×3, first 2 shown]
	s_waitcnt vmcnt(2)
	v_mul_f64 v[4:5], v[6:7], v[21:22]
	v_fma_f64 v[23:24], v[8:9], v[21:22], v[2:3]
	v_fma_f64 v[21:22], v[8:9], v[21:22], -v[2:3]
	v_fma_f64 v[25:26], v[0:1], 0.5, v[4:5]
	v_fma_f64 v[4:5], v[0:1], 0.5, -v[4:5]
	v_fma_f64 v[2:3], -v[19:20], v[6:7], v[23:24]
	v_fma_f64 v[6:7], -v[19:20], v[6:7], v[21:22]
	v_fma_f64 v[0:1], v[8:9], v[19:20], v[25:26]
	v_fma_f64 v[4:5], -v[8:9], v[19:20], v[4:5]
	v_lshlrev_b64 v[8:9], 4, v[81:82]
	ds_write_b128 v27, v[0:3]
	ds_write_b128 v10, v[4:7] offset:13056
	v_add_co_u32 v8, s1, s4, v8
	ds_read_b128 v[0:3], v28
	ds_read_b128 v[4:7], v10 offset:11968
	v_add_co_ci_u32_e64 v9, s1, s5, v9, s1
	global_load_dwordx4 v[19:22], v[8:9], off
	s_waitcnt lgkmcnt(0)
	v_add_f64 v[8:9], v[0:1], -v[4:5]
	v_add_f64 v[23:24], v[2:3], v[6:7]
	v_add_f64 v[2:3], v[2:3], -v[6:7]
	v_add_f64 v[0:1], v[0:1], v[4:5]
	v_mul_f64 v[6:7], v[8:9], 0.5
	v_mul_f64 v[8:9], v[23:24], 0.5
	;; [unrolled: 1-line block ×3, first 2 shown]
	s_waitcnt vmcnt(2)
	v_mul_f64 v[4:5], v[6:7], v[17:18]
	v_fma_f64 v[23:24], v[8:9], v[17:18], v[2:3]
	v_fma_f64 v[17:18], v[8:9], v[17:18], -v[2:3]
	v_fma_f64 v[25:26], v[0:1], 0.5, v[4:5]
	v_fma_f64 v[4:5], v[0:1], 0.5, -v[4:5]
	v_fma_f64 v[2:3], -v[15:16], v[6:7], v[23:24]
	v_fma_f64 v[6:7], -v[15:16], v[6:7], v[17:18]
	v_lshl_add_u32 v23, v83, 4, v238
	v_fma_f64 v[0:1], v[8:9], v[15:16], v[25:26]
	v_fma_f64 v[4:5], -v[8:9], v[15:16], v[4:5]
	ds_write_b128 v28, v[0:3]
	ds_write_b128 v10, v[4:7] offset:11968
	ds_read_b128 v[0:3], v23
	ds_read_b128 v[4:7], v10 offset:10880
	s_waitcnt lgkmcnt(0)
	v_add_f64 v[8:9], v[0:1], -v[4:5]
	v_add_f64 v[15:16], v[2:3], v[6:7]
	v_add_f64 v[2:3], v[2:3], -v[6:7]
	v_add_f64 v[0:1], v[0:1], v[4:5]
	v_mul_f64 v[6:7], v[8:9], 0.5
	v_mul_f64 v[8:9], v[15:16], 0.5
	;; [unrolled: 1-line block ×3, first 2 shown]
	s_waitcnt vmcnt(1)
	v_mul_f64 v[4:5], v[6:7], v[13:14]
	v_fma_f64 v[15:16], v[8:9], v[13:14], v[2:3]
	v_fma_f64 v[13:14], v[8:9], v[13:14], -v[2:3]
	v_fma_f64 v[17:18], v[0:1], 0.5, v[4:5]
	v_fma_f64 v[4:5], v[0:1], 0.5, -v[4:5]
	v_fma_f64 v[2:3], -v[11:12], v[6:7], v[15:16]
	v_fma_f64 v[6:7], -v[11:12], v[6:7], v[13:14]
	v_fma_f64 v[0:1], v[8:9], v[11:12], v[17:18]
	v_fma_f64 v[4:5], -v[8:9], v[11:12], v[4:5]
	v_lshl_add_u32 v17, v81, 4, v238
	ds_write_b128 v23, v[0:3]
	ds_write_b128 v10, v[4:7] offset:10880
	ds_read_b128 v[0:3], v17
	ds_read_b128 v[4:7], v10 offset:9792
	s_waitcnt lgkmcnt(0)
	v_add_f64 v[8:9], v[0:1], -v[4:5]
	v_add_f64 v[11:12], v[2:3], v[6:7]
	v_add_f64 v[2:3], v[2:3], -v[6:7]
	v_add_f64 v[0:1], v[0:1], v[4:5]
	v_mul_f64 v[6:7], v[8:9], 0.5
	v_mul_f64 v[8:9], v[11:12], 0.5
	v_mul_f64 v[2:3], v[2:3], 0.5
	s_waitcnt vmcnt(0)
	v_mul_f64 v[4:5], v[6:7], v[21:22]
	v_fma_f64 v[11:12], v[8:9], v[21:22], v[2:3]
	v_fma_f64 v[13:14], v[8:9], v[21:22], -v[2:3]
	v_fma_f64 v[15:16], v[0:1], 0.5, v[4:5]
	v_fma_f64 v[4:5], v[0:1], 0.5, -v[4:5]
	v_fma_f64 v[2:3], -v[19:20], v[6:7], v[11:12]
	v_fma_f64 v[6:7], -v[19:20], v[6:7], v[13:14]
	v_fma_f64 v[0:1], v[8:9], v[19:20], v[15:16]
	v_fma_f64 v[4:5], -v[8:9], v[19:20], v[4:5]
	ds_write_b128 v17, v[0:3]
	ds_write_b128 v10, v[4:7] offset:9792
	s_and_saveexec_b32 s1, s0
	s_cbranch_execz .LBB0_28
; %bb.27:
	v_mov_b32_e32 v79, v80
	v_lshl_add_u32 v17, v78, 4, v238
	v_lshlrev_b64 v[0:1], 4, v[78:79]
	v_add_co_u32 v0, s0, s4, v0
	v_add_co_ci_u32_e64 v1, s0, s5, v1, s0
	global_load_dwordx4 v[0:3], v[0:1], off
	ds_read_b128 v[4:7], v17
	ds_read_b128 v[11:14], v10 offset:8704
	s_waitcnt lgkmcnt(0)
	v_add_f64 v[8:9], v[4:5], -v[11:12]
	v_add_f64 v[15:16], v[6:7], v[13:14]
	v_add_f64 v[6:7], v[6:7], -v[13:14]
	v_add_f64 v[4:5], v[4:5], v[11:12]
	v_mul_f64 v[8:9], v[8:9], 0.5
	v_mul_f64 v[13:14], v[15:16], 0.5
	;; [unrolled: 1-line block ×3, first 2 shown]
	s_waitcnt vmcnt(0)
	v_mul_f64 v[11:12], v[8:9], v[2:3]
	v_fma_f64 v[15:16], v[13:14], v[2:3], v[6:7]
	v_fma_f64 v[2:3], v[13:14], v[2:3], -v[6:7]
	v_fma_f64 v[6:7], v[4:5], 0.5, v[11:12]
	v_fma_f64 v[11:12], v[4:5], 0.5, -v[11:12]
	v_fma_f64 v[4:5], -v[0:1], v[8:9], v[15:16]
	v_fma_f64 v[8:9], -v[0:1], v[8:9], v[2:3]
	v_fma_f64 v[2:3], v[13:14], v[0:1], v[6:7]
	v_fma_f64 v[6:7], -v[13:14], v[0:1], v[11:12]
	ds_write_b128 v17, v[2:5]
	ds_write_b128 v10, v[6:9] offset:8704
.LBB0_28:
	s_or_b32 exec_lo, exec_lo, s1
	s_waitcnt lgkmcnt(0)
	s_barrier
	buffer_gl0_inv
	s_and_saveexec_b32 s0, vcc_lo
	s_cbranch_execz .LBB0_31
; %bb.29:
	v_mul_lo_u32 v0, s3, v76
	v_mul_lo_u32 v3, s2, v77
	v_mad_u64_u32 v[1:2], null, s2, v76, 0
	v_mov_b32_e32 v75, 0
	v_lshlrev_b64 v[11:12], 4, v[72:73]
	v_add_nc_u32_e32 v15, 0x44, v74
	v_add_nc_u32_e32 v17, 0x88, v74
	;; [unrolled: 1-line block ×3, first 2 shown]
	v_lshlrev_b64 v[19:20], 4, v[74:75]
	v_add3_u32 v2, v2, v3, v0
	v_lshl_add_u32 v0, v74, 4, v238
	v_mov_b32_e32 v16, v75
	ds_read_b128 v[3:6], v0
	ds_read_b128 v[7:10], v0 offset:1088
	v_lshlrev_b64 v[1:2], 4, v[1:2]
	v_mov_b32_e32 v18, v75
	v_lshlrev_b64 v[15:16], 4, v[15:16]
	v_mov_b32_e32 v28, v75
	v_add_nc_u32_e32 v31, 0x1dc, v74
	v_mov_b32_e32 v32, v75
	v_add_co_u32 v1, vcc_lo, s10, v1
	v_add_co_ci_u32_e32 v2, vcc_lo, s11, v2, vcc_lo
	v_lshlrev_b64 v[17:18], 4, v[17:18]
	v_add_co_u32 v1, vcc_lo, v1, v11
	v_add_co_ci_u32_e32 v2, vcc_lo, v2, v12, vcc_lo
	ds_read_b128 v[11:14], v0 offset:2176
	v_add_co_u32 v19, vcc_lo, v1, v19
	v_add_co_ci_u32_e32 v20, vcc_lo, v2, v20, vcc_lo
	v_lshlrev_b64 v[27:28], 4, v[27:28]
	s_waitcnt lgkmcnt(2)
	global_store_dwordx4 v[19:20], v[3:6], off
	v_add_co_u32 v3, vcc_lo, v1, v15
	v_add_co_ci_u32_e32 v4, vcc_lo, v2, v16, vcc_lo
	v_add_co_u32 v15, vcc_lo, v1, v17
	v_add_co_ci_u32_e32 v16, vcc_lo, v2, v18, vcc_lo
	v_add_nc_u32_e32 v17, 0xcc, v74
	v_mov_b32_e32 v18, v75
	v_add_nc_u32_e32 v19, 0x110, v74
	v_mov_b32_e32 v20, v75
	s_waitcnt lgkmcnt(1)
	global_store_dwordx4 v[3:4], v[7:10], off
	ds_read_b128 v[3:6], v0 offset:3264
	s_waitcnt lgkmcnt(1)
	global_store_dwordx4 v[15:16], v[11:14], off
	v_lshlrev_b64 v[15:16], 4, v[17:18]
	v_lshlrev_b64 v[17:18], 4, v[19:20]
	v_add_nc_u32_e32 v19, 0x154, v74
	ds_read_b128 v[7:10], v0 offset:4352
	ds_read_b128 v[11:14], v0 offset:5440
	v_add_co_u32 v23, vcc_lo, v1, v15
	v_lshlrev_b64 v[19:20], 4, v[19:20]
	v_add_co_ci_u32_e32 v24, vcc_lo, v2, v16, vcc_lo
	v_add_co_u32 v25, vcc_lo, v1, v17
	v_add_co_ci_u32_e32 v26, vcc_lo, v2, v18, vcc_lo
	v_add_co_u32 v29, vcc_lo, v1, v19
	ds_read_b128 v[15:18], v0 offset:6528
	v_add_co_ci_u32_e32 v30, vcc_lo, v2, v20, vcc_lo
	ds_read_b128 v[19:22], v0 offset:7616
	s_waitcnt lgkmcnt(4)
	global_store_dwordx4 v[23:24], v[3:6], off
	s_waitcnt lgkmcnt(3)
	global_store_dwordx4 v[25:26], v[7:10], off
	;; [unrolled: 2-line block ×3, first 2 shown]
	v_lshlrev_b64 v[3:4], 4, v[31:32]
	v_add_co_u32 v5, vcc_lo, v1, v27
	v_add_co_ci_u32_e32 v6, vcc_lo, v2, v28, vcc_lo
	v_add_nc_u32_e32 v7, 0x220, v74
	v_add_co_u32 v3, vcc_lo, v1, v3
	v_add_co_ci_u32_e32 v4, vcc_lo, v2, v4, vcc_lo
	v_mov_b32_e32 v8, v75
	v_add_nc_u32_e32 v11, 0x264, v74
	v_mov_b32_e32 v12, v75
	s_waitcnt lgkmcnt(1)
	global_store_dwordx4 v[5:6], v[15:18], off
	v_add_nc_u32_e32 v25, 0x3b8, v74
	v_lshlrev_b64 v[15:16], 4, v[7:8]
	s_waitcnt lgkmcnt(0)
	global_store_dwordx4 v[3:4], v[19:22], off
	ds_read_b128 v[3:6], v0 offset:8704
	ds_read_b128 v[7:10], v0 offset:9792
	v_lshlrev_b64 v[17:18], 4, v[11:12]
	ds_read_b128 v[11:14], v0 offset:10880
	v_add_nc_u32_e32 v19, 0x2a8, v74
	v_mov_b32_e32 v20, v75
	v_add_co_u32 v15, vcc_lo, v1, v15
	v_add_co_ci_u32_e32 v16, vcc_lo, v2, v16, vcc_lo
	v_lshlrev_b64 v[19:20], 4, v[19:20]
	v_add_co_u32 v17, vcc_lo, v1, v17
	v_add_nc_u32_e32 v21, 0x2ec, v74
	v_mov_b32_e32 v22, v75
	v_add_co_ci_u32_e32 v18, vcc_lo, v2, v18, vcc_lo
	v_add_co_u32 v19, vcc_lo, v1, v19
	s_waitcnt lgkmcnt(2)
	global_store_dwordx4 v[15:16], v[3:6], off
	s_waitcnt lgkmcnt(1)
	global_store_dwordx4 v[17:18], v[7:10], off
	v_lshlrev_b64 v[7:8], 4, v[21:22]
	v_add_co_ci_u32_e32 v20, vcc_lo, v2, v20, vcc_lo
	v_add_nc_u32_e32 v9, 0x330, v74
	v_mov_b32_e32 v10, v75
	v_add_nc_u32_e32 v15, 0x374, v74
	s_waitcnt lgkmcnt(0)
	global_store_dwordx4 v[19:20], v[11:14], off
	v_mov_b32_e32 v16, v75
	v_add_co_u32 v19, vcc_lo, v1, v7
	ds_read_b128 v[3:6], v0 offset:11968
	v_add_co_ci_u32_e32 v20, vcc_lo, v2, v8, vcc_lo
	v_lshlrev_b64 v[21:22], 4, v[9:10]
	ds_read_b128 v[7:10], v0 offset:13056
	ds_read_b128 v[11:14], v0 offset:14144
	v_mov_b32_e32 v26, v75
	v_lshlrev_b64 v[23:24], 4, v[15:16]
	ds_read_b128 v[15:18], v0 offset:15232
	v_add_co_u32 v21, vcc_lo, v1, v21
	v_lshlrev_b64 v[25:26], 4, v[25:26]
	v_add_co_ci_u32_e32 v22, vcc_lo, v2, v22, vcc_lo
	v_add_co_u32 v23, vcc_lo, v1, v23
	v_add_co_ci_u32_e32 v24, vcc_lo, v2, v24, vcc_lo
	v_add_co_u32 v25, vcc_lo, v1, v25
	v_add_co_ci_u32_e32 v26, vcc_lo, v2, v26, vcc_lo
	v_cmp_eq_u32_e32 vcc_lo, 0x43, v74
	s_waitcnt lgkmcnt(3)
	global_store_dwordx4 v[19:20], v[3:6], off
	s_waitcnt lgkmcnt(2)
	global_store_dwordx4 v[21:22], v[7:10], off
	;; [unrolled: 2-line block ×4, first 2 shown]
	s_and_b32 exec_lo, exec_lo, vcc_lo
	s_cbranch_execz .LBB0_31
; %bb.30:
	ds_read_b128 v[3:6], v0 offset:15248
	v_add_co_u32 v0, vcc_lo, 0x3800, v1
	v_add_co_ci_u32_e32 v1, vcc_lo, 0, v2, vcc_lo
	s_waitcnt lgkmcnt(0)
	global_store_dwordx4 v[0:1], v[3:6], off offset:1984
.LBB0_31:
	s_endpgm
	.section	.rodata,"a",@progbits
	.p2align	6, 0x0
	.amdhsa_kernel fft_rtc_back_len1020_factors_2_17_2_3_5_wgs_204_tpt_68_halfLds_dp_op_CI_CI_unitstride_sbrr_R2C_dirReg
		.amdhsa_group_segment_fixed_size 0
		.amdhsa_private_segment_fixed_size 68
		.amdhsa_kernarg_size 104
		.amdhsa_user_sgpr_count 6
		.amdhsa_user_sgpr_private_segment_buffer 1
		.amdhsa_user_sgpr_dispatch_ptr 0
		.amdhsa_user_sgpr_queue_ptr 0
		.amdhsa_user_sgpr_kernarg_segment_ptr 1
		.amdhsa_user_sgpr_dispatch_id 0
		.amdhsa_user_sgpr_flat_scratch_init 0
		.amdhsa_user_sgpr_private_segment_size 0
		.amdhsa_wavefront_size32 1
		.amdhsa_uses_dynamic_stack 0
		.amdhsa_system_sgpr_private_segment_wavefront_offset 1
		.amdhsa_system_sgpr_workgroup_id_x 1
		.amdhsa_system_sgpr_workgroup_id_y 0
		.amdhsa_system_sgpr_workgroup_id_z 0
		.amdhsa_system_sgpr_workgroup_info 0
		.amdhsa_system_vgpr_workitem_id 0
		.amdhsa_next_free_vgpr 255
		.amdhsa_next_free_sgpr 64
		.amdhsa_reserve_vcc 1
		.amdhsa_reserve_flat_scratch 0
		.amdhsa_float_round_mode_32 0
		.amdhsa_float_round_mode_16_64 0
		.amdhsa_float_denorm_mode_32 3
		.amdhsa_float_denorm_mode_16_64 3
		.amdhsa_dx10_clamp 1
		.amdhsa_ieee_mode 1
		.amdhsa_fp16_overflow 0
		.amdhsa_workgroup_processor_mode 1
		.amdhsa_memory_ordered 1
		.amdhsa_forward_progress 0
		.amdhsa_shared_vgpr_count 0
		.amdhsa_exception_fp_ieee_invalid_op 0
		.amdhsa_exception_fp_denorm_src 0
		.amdhsa_exception_fp_ieee_div_zero 0
		.amdhsa_exception_fp_ieee_overflow 0
		.amdhsa_exception_fp_ieee_underflow 0
		.amdhsa_exception_fp_ieee_inexact 0
		.amdhsa_exception_int_div_zero 0
	.end_amdhsa_kernel
	.text
.Lfunc_end0:
	.size	fft_rtc_back_len1020_factors_2_17_2_3_5_wgs_204_tpt_68_halfLds_dp_op_CI_CI_unitstride_sbrr_R2C_dirReg, .Lfunc_end0-fft_rtc_back_len1020_factors_2_17_2_3_5_wgs_204_tpt_68_halfLds_dp_op_CI_CI_unitstride_sbrr_R2C_dirReg
                                        ; -- End function
	.section	.AMDGPU.csdata,"",@progbits
; Kernel info:
; codeLenInByte = 18344
; NumSgprs: 66
; NumVgprs: 255
; ScratchSize: 68
; MemoryBound: 0
; FloatMode: 240
; IeeeMode: 1
; LDSByteSize: 0 bytes/workgroup (compile time only)
; SGPRBlocks: 8
; VGPRBlocks: 31
; NumSGPRsForWavesPerEU: 66
; NumVGPRsForWavesPerEU: 255
; Occupancy: 4
; WaveLimiterHint : 1
; COMPUTE_PGM_RSRC2:SCRATCH_EN: 1
; COMPUTE_PGM_RSRC2:USER_SGPR: 6
; COMPUTE_PGM_RSRC2:TRAP_HANDLER: 0
; COMPUTE_PGM_RSRC2:TGID_X_EN: 1
; COMPUTE_PGM_RSRC2:TGID_Y_EN: 0
; COMPUTE_PGM_RSRC2:TGID_Z_EN: 0
; COMPUTE_PGM_RSRC2:TIDIG_COMP_CNT: 0
	.text
	.p2alignl 6, 3214868480
	.fill 48, 4, 3214868480
	.type	__hip_cuid_534ea87dfe11b29a,@object ; @__hip_cuid_534ea87dfe11b29a
	.section	.bss,"aw",@nobits
	.globl	__hip_cuid_534ea87dfe11b29a
__hip_cuid_534ea87dfe11b29a:
	.byte	0                               ; 0x0
	.size	__hip_cuid_534ea87dfe11b29a, 1

	.ident	"AMD clang version 19.0.0git (https://github.com/RadeonOpenCompute/llvm-project roc-6.4.0 25133 c7fe45cf4b819c5991fe208aaa96edf142730f1d)"
	.section	".note.GNU-stack","",@progbits
	.addrsig
	.addrsig_sym __hip_cuid_534ea87dfe11b29a
	.amdgpu_metadata
---
amdhsa.kernels:
  - .args:
      - .actual_access:  read_only
        .address_space:  global
        .offset:         0
        .size:           8
        .value_kind:     global_buffer
      - .offset:         8
        .size:           8
        .value_kind:     by_value
      - .actual_access:  read_only
        .address_space:  global
        .offset:         16
        .size:           8
        .value_kind:     global_buffer
      - .actual_access:  read_only
        .address_space:  global
        .offset:         24
        .size:           8
        .value_kind:     global_buffer
      - .actual_access:  read_only
        .address_space:  global
        .offset:         32
        .size:           8
        .value_kind:     global_buffer
      - .offset:         40
        .size:           8
        .value_kind:     by_value
      - .actual_access:  read_only
        .address_space:  global
        .offset:         48
        .size:           8
        .value_kind:     global_buffer
      - .actual_access:  read_only
        .address_space:  global
        .offset:         56
        .size:           8
        .value_kind:     global_buffer
      - .offset:         64
        .size:           4
        .value_kind:     by_value
      - .actual_access:  read_only
        .address_space:  global
        .offset:         72
        .size:           8
        .value_kind:     global_buffer
      - .actual_access:  read_only
        .address_space:  global
        .offset:         80
        .size:           8
        .value_kind:     global_buffer
      - .actual_access:  read_only
        .address_space:  global
        .offset:         88
        .size:           8
        .value_kind:     global_buffer
      - .actual_access:  write_only
        .address_space:  global
        .offset:         96
        .size:           8
        .value_kind:     global_buffer
    .group_segment_fixed_size: 0
    .kernarg_segment_align: 8
    .kernarg_segment_size: 104
    .language:       OpenCL C
    .language_version:
      - 2
      - 0
    .max_flat_workgroup_size: 204
    .name:           fft_rtc_back_len1020_factors_2_17_2_3_5_wgs_204_tpt_68_halfLds_dp_op_CI_CI_unitstride_sbrr_R2C_dirReg
    .private_segment_fixed_size: 68
    .sgpr_count:     66
    .sgpr_spill_count: 0
    .symbol:         fft_rtc_back_len1020_factors_2_17_2_3_5_wgs_204_tpt_68_halfLds_dp_op_CI_CI_unitstride_sbrr_R2C_dirReg.kd
    .uniform_work_group_size: 1
    .uses_dynamic_stack: false
    .vgpr_count:     255
    .vgpr_spill_count: 16
    .wavefront_size: 32
    .workgroup_processor_mode: 1
amdhsa.target:   amdgcn-amd-amdhsa--gfx1030
amdhsa.version:
  - 1
  - 2
...

	.end_amdgpu_metadata
